;; amdgpu-corpus repo=ROCm/aiter kind=harvested arch=n/a opt=n/a

/root/src/amdgpu-assembly/repos/ROCm__aiter/hsa/gfx950/fmoe_2stages/fmoe_stage1_bf16_pertokenFp8_doweight_g1u1_144x128_pf2.co:	file format elf64-amdgpu

Disassembly of section .text:

0000000000002a00 <_ZN5aiter54fmoe_stage1_bf16_pertokenFp8_doweight_g1u1_144x128_pf2E>:
	s_and_b32 s1, s1, 0xffff                                   // 000000002A00: 8601FF01 0000FFFF
	s_load_dwordx2 s[8:9], s[0:1], 0x0                         // 000000002A08: C0060200 00000000
	s_load_dwordx2 s[20:21], s[0:1], 0x10                      // 000000002A10: C0060500 00000010
	s_load_dwordx2 s[24:25], s[0:1], 0x20                      // 000000002A18: C0060600 00000020
	s_load_dwordx2 s[48:49], s[0:1], 0x30                      // 000000002A20: C0060C00 00000030
	s_load_dwordx2 s[28:29], s[0:1], 0x40                      // 000000002A28: C0060700 00000040
	s_load_dwordx2 s[32:33], s[0:1], 0x50                      // 000000002A30: C0060800 00000050
	s_load_dwordx2 s[36:37], s[0:1], 0x60                      // 000000002A38: C0060900 00000060
	s_load_dwordx2 s[12:13], s[0:1], 0x70                      // 000000002A40: C0060300 00000070
	s_load_dwordx2 s[44:45], s[0:1], 0x80                      // 000000002A48: C0060B00 00000080
	s_mov_b32 s89, 0                                           // 000000002A50: BED90080
	s_load_dword s64, s[0:1], 0x90                             // 000000002A54: C0021000 00000090
	s_load_dword s65, s[0:1], 0xa0                             // 000000002A5C: C0021040 000000A0
	s_load_dword s66, s[0:1], 0xb0                             // 000000002A64: C0021080 000000B0
	s_load_dword s67, s[0:1], 0xc0                             // 000000002A6C: C00210C0 000000C0
	s_load_dword s68, s[0:1], 0xd0                             // 000000002A74: C0021100 000000D0
	s_load_dword s69, s[0:1], 0xe0                             // 000000002A7C: C0021140 000000E0
	s_load_dword s71, s[0:1], 0xf0                             // 000000002A84: C00211C0 000000F0
	s_load_dword s72, s[0:1], 0x100                            // 000000002A8C: C0021200 00000100
	s_load_dword s74, s[0:1], 0x110                            // 000000002A94: C0021280 00000110
	s_load_dword s76, s[0:1], 0x120                            // 000000002A9C: C0021300 00000120
	s_load_dword s56, s[0:1], 0x130                            // 000000002AA4: C0020E00 00000130
	s_load_dword s88, s[0:1], 0x140                            // 000000002AAC: C0021600 00000140
	s_load_dword s89, s[0:1], 0x150                            // 000000002AB4: C0021640 00000150
	s_load_dwordx2 s[40:41], s[0:1], 0x160                     // 000000002ABC: C0060A00 00000160
	v_lshrrev_b32_e32 v1, 10, v0                               // 000000002AC4: 2002008A
	v_lshrrev_b32_e32 v2, 10, v1                               // 000000002AC8: 2004028A
	v_and_b32_e32 v2, 0x3ff, v2                                // 000000002ACC: 260404FF 000003FF
	v_and_b32_e32 v1, 0x3ff, v1                                // 000000002AD4: 260202FF 000003FF
	v_and_b32_e32 v0, 0x3ff, v0                                // 000000002ADC: 260000FF 000003FF
	v_lshrrev_b32_e32 v3, 6, v0                                // 000000002AE4: 20060086
	v_and_b32_e32 v0, 63, v0                                   // 000000002AE8: 260000BF
	s_mov_b32 s2, s2                                           // 000000002AEC: BE820002
	s_mov_b32 s3, s3                                           // 000000002AF0: BE830003
	s_mov_b32 s4, s4                                           // 000000002AF4: BE840004
	v_readfirstlane_b32 s7, v3                                 // 000000002AF8: 7E0E0503
	s_waitcnt lgkmcnt(0)                                       // 000000002AFC: BF8CC07F
	s_and_b32 s49, s49, 0xffff                                 // 000000002B00: 8631FF31 0000FFFF
	s_load_dword s48, s[48:49], 0x0                            // 000000002B08: C0020C18 00000000
	s_and_b32 s45, s45, 0xffff                                 // 000000002B10: 862DFF2D 0000FFFF
	s_and_b32 s9, s9, 0xffff                                   // 000000002B18: 8609FF09 0000FFFF
	s_mul_i32 s60, s66, s68                                    // 000000002B20: 923C4442
	s_mul_i32 s61, s66, 4                                      // 000000002B24: 923D8442
	s_mov_b32 s22, s60                                         // 000000002B28: BE96003C
	s_mov_b32 s26, -16                                         // 000000002B2C: BE9A00D0
	s_mov_b32 s30, s61                                         // 000000002B30: BE9E003D
	s_mov_b32 s14, 0x240                                       // 000000002B34: BE8E00FF 00000240
	s_mov_b32 s38, -16                                         // 000000002B3C: BEA600D0
	s_mov_b32 s10, -16                                         // 000000002B40: BE8A00D0
	s_mov_b32 s34, 0x200                                       // 000000002B44: BEA200FF 00000200
	s_mov_b32 s23, 0x20000                                     // 000000002B4C: BE9700FF 00020000
	s_mov_b32 s27, 0x20000                                     // 000000002B54: BE9B00FF 00020000
	s_mov_b32 s31, 0x20000                                     // 000000002B5C: BE9F00FF 00020000
	s_mov_b32 s35, 0x20000                                     // 000000002B64: BEA300FF 00020000
	s_mov_b32 s15, 0x20000                                     // 000000002B6C: BE8F00FF 00020000
	s_mov_b32 s39, 0x20000                                     // 000000002B74: BEA700FF 00020000
	s_mov_b32 s11, 0x20000                                     // 000000002B7C: BE8B00FF 00020000
	s_and_b32 s21, s21, 0xffff                                 // 000000002B84: 8615FF15 0000FFFF
	s_and_b32 s25, s25, 0xffff                                 // 000000002B8C: 8619FF19 0000FFFF
	s_and_b32 s29, s29, 0xffff                                 // 000000002B94: 861DFF1D 0000FFFF
	s_and_b32 s33, s33, 0xffff                                 // 000000002B9C: 8621FF21 0000FFFF
	s_and_b32 s13, s13, 0xffff                                 // 000000002BA4: 860DFF0D 0000FFFF
	s_and_b32 s37, s37, 0xffff                                 // 000000002BAC: 8625FF25 0000FFFF
	s_or_b32 s21, s21, 0x40000                                 // 000000002BB4: 8715FF15 00040000
	s_or_b32 s25, s25, 0x40000                                 // 000000002BBC: 8719FF19 00040000
	s_or_b32 s29, s29, 0x40000                                 // 000000002BC4: 871DFF1D 00040000
	s_or_b32 s33, s33, 0x40000                                 // 000000002BCC: 8721FF21 00040000
	s_or_b32 s13, s13, 0x40000                                 // 000000002BD4: 870DFF0D 00040000
	s_or_b32 s37, s37, 0x40000                                 // 000000002BDC: 8725FF25 00040000
	s_mov_b32 s42, -16                                         // 000000002BE4: BEAA00D0
	s_mov_b32 s43, 0x20000                                     // 000000002BE8: BEAB00FF 00020000
	s_and_b32 s41, s41, 0xffff                                 // 000000002BF0: 8629FF29 0000FFFF
	s_or_b32 s41, s41, 0x40000                                 // 000000002BF8: 8729FF29 00040000
	v_accvgpr_write_b32 a175, 0                                // 000000002C00: D3D940AF 18000080
	v_mov_b32_e32 v236, 0                                      // 000000002C08: 7FD80280
	s_waitcnt lgkmcnt(0)                                       // 000000002C0C: BF8CC07F
	s_mul_i32 s60, s3, 0x90                                    // 000000002C10: 923CFF03 00000090
	s_cmp_lt_i32 s60, s48                                      // 000000002C18: BF04303C
	s_cbranch_scc0 label_358A                                  // 000000002C1C: BF8434FF
	s_mov_b32 s80, 0                                           // 000000002C20: BED00080
	s_lshr_b32 s81, s64, s88                                   // 000000002C24: 8F515840
	s_mul_i32 s60, s3, 4                                       // 000000002C28: 923C8403
	s_add_u32 s44, s60, s44                                    // 000000002C2C: 802C2C3C
	s_addc_u32 s45, 0, s45                                     // 000000002C30: 822D2D80
	s_load_dword s5, s[44:45], 0x0                             // 000000002C34: C0020156 00000000
	s_mul_i32 s60, s3, 0x90                                    // 000000002C3C: 923CFF03 00000090
	s_mul_i32 s60, 4, s60                                      // 000000002C44: 923C3C84
	s_add_u32 s12, s60, s12                                    // 000000002C48: 800C0C3C
	s_addc_u32 s13, 0, s13                                     // 000000002C4C: 820D0D80
	v_and_b32_e32 v4, 15, v0                                   // 000000002C50: 2608008F
	v_lshlrev_b32_e32 v4, 2, v4                                // 000000002C54: 24080882
	buffer_load_dword v28, v4, s[12:15], 0 offen               // 000000002C58: E0501000 80031C04
	v_add_u32_e32 v4, 64, v4                                   // 000000002C60: 680808C0
	buffer_load_dword v29, v4, s[12:15], 0 offen               // 000000002C64: E0501000 80031D04
	v_add_u32_e32 v4, 64, v4                                   // 000000002C6C: 680808C0
	buffer_load_dword v30, v4, s[12:15], 0 offen               // 000000002C70: E0501000 80031E04
	v_add_u32_e32 v4, 64, v4                                   // 000000002C78: 680808C0
	buffer_load_dword v31, v4, s[12:15], 0 offen               // 000000002C7C: E0501000 80031F04
	v_add_u32_e32 v4, 64, v4                                   // 000000002C84: 680808C0
	buffer_load_dword v32, v4, s[12:15], 0 offen               // 000000002C88: E0501000 80032004
	v_add_u32_e32 v4, 64, v4                                   // 000000002C90: 680808C0
	buffer_load_dword v33, v4, s[12:15], 0 offen               // 000000002C94: E0501000 80032104
	v_add_u32_e32 v4, 64, v4                                   // 000000002C9C: 680808C0
	buffer_load_dword v34, v4, s[12:15], 0 offen               // 000000002CA0: E0501000 80032204
	v_add_u32_e32 v4, 64, v4                                   // 000000002CA8: 680808C0
	buffer_load_dword v35, v4, s[12:15], 0 offen               // 000000002CAC: E0501000 80032304
	v_add_u32_e32 v4, 64, v4                                   // 000000002CB4: 680808C0
	buffer_load_dword v36, v4, s[12:15], 0 offen               // 000000002CB8: E0501000 80032404
	v_add_u32_e32 v4, 64, v4                                   // 000000002CC0: 680808C0
	s_mul_i32 s60, 4, s7                                       // 000000002CC4: 923C0784
	v_lshlrev_b32_e32 v4, 4, v0                                // 000000002CC8: 24080084
	v_add_u32_e32 v4, s60, v4                                  // 000000002CCC: 6808083C
	buffer_load_dword v3, v4, s[12:15], 0 offen                // 000000002CD0: E0501000 80030304
	v_mov_b32_e32 v84, 0                                       // 000000002CD8: 7EA80280
	v_mov_b32_e32 v156, 0                                      // 000000002CDC: 7F380280
	v_mov_b32_e32 v85, 0                                       // 000000002CE0: 7EAA0280
	v_mov_b32_e32 v157, 0                                      // 000000002CE4: 7F3A0280
	v_mov_b32_e32 v86, 0                                       // 000000002CE8: 7EAC0280
	v_mov_b32_e32 v158, 0                                      // 000000002CEC: 7F3C0280
	v_mov_b32_e32 v87, 0                                       // 000000002CF0: 7EAE0280
	v_mov_b32_e32 v159, 0                                      // 000000002CF4: 7F3E0280
	v_mov_b32_e32 v88, 0                                       // 000000002CF8: 7EB00280
	v_mov_b32_e32 v160, 0                                      // 000000002CFC: 7F400280
	v_mov_b32_e32 v89, 0                                       // 000000002D00: 7EB20280
	v_mov_b32_e32 v161, 0                                      // 000000002D04: 7F420280
	v_mov_b32_e32 v90, 0                                       // 000000002D08: 7EB40280
	v_mov_b32_e32 v162, 0                                      // 000000002D0C: 7F440280
	v_mov_b32_e32 v91, 0                                       // 000000002D10: 7EB60280
	v_mov_b32_e32 v163, 0                                      // 000000002D14: 7F460280
	v_mov_b32_e32 v92, 0                                       // 000000002D18: 7EB80280
	v_mov_b32_e32 v164, 0                                      // 000000002D1C: 7F480280
	v_mov_b32_e32 v93, 0                                       // 000000002D20: 7EBA0280
	v_mov_b32_e32 v165, 0                                      // 000000002D24: 7F4A0280
	v_mov_b32_e32 v94, 0                                       // 000000002D28: 7EBC0280
	v_mov_b32_e32 v166, 0                                      // 000000002D2C: 7F4C0280
	v_mov_b32_e32 v95, 0                                       // 000000002D30: 7EBE0280
	v_mov_b32_e32 v167, 0                                      // 000000002D34: 7F4E0280
	v_mov_b32_e32 v96, 0                                       // 000000002D38: 7EC00280
	v_mov_b32_e32 v168, 0                                      // 000000002D3C: 7F500280
	v_mov_b32_e32 v97, 0                                       // 000000002D40: 7EC20280
	v_mov_b32_e32 v169, 0                                      // 000000002D44: 7F520280
	v_mov_b32_e32 v98, 0                                       // 000000002D48: 7EC40280
	v_mov_b32_e32 v170, 0                                      // 000000002D4C: 7F540280
	v_mov_b32_e32 v99, 0                                       // 000000002D50: 7EC60280
	v_mov_b32_e32 v171, 0                                      // 000000002D54: 7F560280
	v_mov_b32_e32 v100, 0                                      // 000000002D58: 7EC80280
	v_mov_b32_e32 v172, 0                                      // 000000002D5C: 7F580280
	v_mov_b32_e32 v101, 0                                      // 000000002D60: 7ECA0280
	v_mov_b32_e32 v173, 0                                      // 000000002D64: 7F5A0280
	v_mov_b32_e32 v102, 0                                      // 000000002D68: 7ECC0280
	v_mov_b32_e32 v174, 0                                      // 000000002D6C: 7F5C0280
	v_mov_b32_e32 v103, 0                                      // 000000002D70: 7ECE0280
	v_mov_b32_e32 v175, 0                                      // 000000002D74: 7F5E0280
	v_mov_b32_e32 v104, 0                                      // 000000002D78: 7ED00280
	v_mov_b32_e32 v176, 0                                      // 000000002D7C: 7F600280
	v_mov_b32_e32 v105, 0                                      // 000000002D80: 7ED20280
	v_mov_b32_e32 v177, 0                                      // 000000002D84: 7F620280
	v_mov_b32_e32 v106, 0                                      // 000000002D88: 7ED40280
	v_mov_b32_e32 v178, 0                                      // 000000002D8C: 7F640280
	v_mov_b32_e32 v107, 0                                      // 000000002D90: 7ED60280
	v_mov_b32_e32 v179, 0                                      // 000000002D94: 7F660280
	v_mov_b32_e32 v108, 0                                      // 000000002D98: 7ED80280
	v_mov_b32_e32 v180, 0                                      // 000000002D9C: 7F680280
	v_mov_b32_e32 v109, 0                                      // 000000002DA0: 7EDA0280
	v_mov_b32_e32 v181, 0                                      // 000000002DA4: 7F6A0280
	v_mov_b32_e32 v110, 0                                      // 000000002DA8: 7EDC0280
	v_mov_b32_e32 v182, 0                                      // 000000002DAC: 7F6C0280
	v_mov_b32_e32 v111, 0                                      // 000000002DB0: 7EDE0280
	v_mov_b32_e32 v183, 0                                      // 000000002DB4: 7F6E0280
	v_mov_b32_e32 v112, 0                                      // 000000002DB8: 7EE00280
	v_mov_b32_e32 v184, 0                                      // 000000002DBC: 7F700280
	v_mov_b32_e32 v113, 0                                      // 000000002DC0: 7EE20280
	v_mov_b32_e32 v185, 0                                      // 000000002DC4: 7F720280
	v_mov_b32_e32 v114, 0                                      // 000000002DC8: 7EE40280
	v_mov_b32_e32 v186, 0                                      // 000000002DCC: 7F740280
	v_mov_b32_e32 v115, 0                                      // 000000002DD0: 7EE60280
	v_mov_b32_e32 v187, 0                                      // 000000002DD4: 7F760280
	v_mov_b32_e32 v116, 0                                      // 000000002DD8: 7EE80280
	v_mov_b32_e32 v188, 0                                      // 000000002DDC: 7F780280
	v_mov_b32_e32 v117, 0                                      // 000000002DE0: 7EEA0280
	v_mov_b32_e32 v189, 0                                      // 000000002DE4: 7F7A0280
	v_mov_b32_e32 v118, 0                                      // 000000002DE8: 7EEC0280
	v_mov_b32_e32 v190, 0                                      // 000000002DEC: 7F7C0280
	v_mov_b32_e32 v119, 0                                      // 000000002DF0: 7EEE0280
	v_mov_b32_e32 v191, 0                                      // 000000002DF4: 7F7E0280
	v_mov_b32_e32 v120, 0                                      // 000000002DF8: 7EF00280
	v_mov_b32_e32 v192, 0                                      // 000000002DFC: 7F800280
	v_mov_b32_e32 v121, 0                                      // 000000002E00: 7EF20280
	v_mov_b32_e32 v193, 0                                      // 000000002E04: 7F820280
	v_mov_b32_e32 v122, 0                                      // 000000002E08: 7EF40280
	v_mov_b32_e32 v194, 0                                      // 000000002E0C: 7F840280
	v_mov_b32_e32 v123, 0                                      // 000000002E10: 7EF60280
	v_mov_b32_e32 v195, 0                                      // 000000002E14: 7F860280
	v_mov_b32_e32 v124, 0                                      // 000000002E18: 7EF80280
	v_mov_b32_e32 v196, 0                                      // 000000002E1C: 7F880280
	v_mov_b32_e32 v125, 0                                      // 000000002E20: 7EFA0280
	v_mov_b32_e32 v197, 0                                      // 000000002E24: 7F8A0280
	v_mov_b32_e32 v126, 0                                      // 000000002E28: 7EFC0280
	v_mov_b32_e32 v198, 0                                      // 000000002E2C: 7F8C0280
	v_mov_b32_e32 v127, 0                                      // 000000002E30: 7EFE0280
	v_mov_b32_e32 v199, 0                                      // 000000002E34: 7F8E0280
	v_mov_b32_e32 v128, 0                                      // 000000002E38: 7F000280
	v_mov_b32_e32 v200, 0                                      // 000000002E3C: 7F900280
	v_mov_b32_e32 v129, 0                                      // 000000002E40: 7F020280
	v_mov_b32_e32 v201, 0                                      // 000000002E44: 7F920280
	v_mov_b32_e32 v130, 0                                      // 000000002E48: 7F040280
	v_mov_b32_e32 v202, 0                                      // 000000002E4C: 7F940280
	v_mov_b32_e32 v131, 0                                      // 000000002E50: 7F060280
	v_mov_b32_e32 v203, 0                                      // 000000002E54: 7F960280
	v_mov_b32_e32 v132, 0                                      // 000000002E58: 7F080280
	v_mov_b32_e32 v204, 0                                      // 000000002E5C: 7F980280
	v_mov_b32_e32 v133, 0                                      // 000000002E60: 7F0A0280
	v_mov_b32_e32 v205, 0                                      // 000000002E64: 7F9A0280
	v_mov_b32_e32 v134, 0                                      // 000000002E68: 7F0C0280
	v_mov_b32_e32 v206, 0                                      // 000000002E6C: 7F9C0280
	v_mov_b32_e32 v135, 0                                      // 000000002E70: 7F0E0280
	v_mov_b32_e32 v207, 0                                      // 000000002E74: 7F9E0280
	v_mov_b32_e32 v136, 0                                      // 000000002E78: 7F100280
	v_mov_b32_e32 v208, 0                                      // 000000002E7C: 7FA00280
	v_mov_b32_e32 v137, 0                                      // 000000002E80: 7F120280
	v_mov_b32_e32 v209, 0                                      // 000000002E84: 7FA20280
	v_mov_b32_e32 v138, 0                                      // 000000002E88: 7F140280
	v_mov_b32_e32 v210, 0                                      // 000000002E8C: 7FA40280
	v_mov_b32_e32 v139, 0                                      // 000000002E90: 7F160280
	v_mov_b32_e32 v211, 0                                      // 000000002E94: 7FA60280
	v_mov_b32_e32 v140, 0                                      // 000000002E98: 7F180280
	v_mov_b32_e32 v212, 0                                      // 000000002E9C: 7FA80280
	v_mov_b32_e32 v141, 0                                      // 000000002EA0: 7F1A0280
	v_mov_b32_e32 v213, 0                                      // 000000002EA4: 7FAA0280
	v_mov_b32_e32 v142, 0                                      // 000000002EA8: 7F1C0280
	v_mov_b32_e32 v214, 0                                      // 000000002EAC: 7FAC0280
	v_mov_b32_e32 v143, 0                                      // 000000002EB0: 7F1E0280
	v_mov_b32_e32 v215, 0                                      // 000000002EB4: 7FAE0280
	v_mov_b32_e32 v144, 0                                      // 000000002EB8: 7F200280
	v_mov_b32_e32 v216, 0                                      // 000000002EBC: 7FB00280
	v_mov_b32_e32 v145, 0                                      // 000000002EC0: 7F220280
	v_mov_b32_e32 v217, 0                                      // 000000002EC4: 7FB20280
	v_mov_b32_e32 v146, 0                                      // 000000002EC8: 7F240280
	v_mov_b32_e32 v218, 0                                      // 000000002ECC: 7FB40280
	v_mov_b32_e32 v147, 0                                      // 000000002ED0: 7F260280
	v_mov_b32_e32 v219, 0                                      // 000000002ED4: 7FB60280
	v_mov_b32_e32 v148, 0                                      // 000000002ED8: 7F280280
	v_mov_b32_e32 v220, 0                                      // 000000002EDC: 7FB80280
	v_mov_b32_e32 v149, 0                                      // 000000002EE0: 7F2A0280
	v_mov_b32_e32 v221, 0                                      // 000000002EE4: 7FBA0280
	v_mov_b32_e32 v150, 0                                      // 000000002EE8: 7F2C0280
	v_mov_b32_e32 v222, 0                                      // 000000002EEC: 7FBC0280
	v_mov_b32_e32 v151, 0                                      // 000000002EF0: 7F2E0280
	v_mov_b32_e32 v223, 0                                      // 000000002EF4: 7FBE0280
	v_mov_b32_e32 v152, 0                                      // 000000002EF8: 7F300280
	v_mov_b32_e32 v224, 0                                      // 000000002EFC: 7FC00280
	v_mov_b32_e32 v153, 0                                      // 000000002F00: 7F320280
	v_mov_b32_e32 v225, 0                                      // 000000002F04: 7FC20280
	v_mov_b32_e32 v154, 0                                      // 000000002F08: 7F340280
	v_mov_b32_e32 v226, 0                                      // 000000002F0C: 7FC40280
	v_mov_b32_e32 v155, 0                                      // 000000002F10: 7F360280
	v_mov_b32_e32 v227, 0                                      // 000000002F14: 7FC60280
	s_mul_i32 s60, s2, 0x100                                   // 000000002F18: 923CFF02 00000100
	s_cmp_eq_u32 s88, 0                                        // 000000002F20: BF068058
	s_cselect_b32 s61, 1, 2                                    // 000000002F24: 853D8281
	s_mul_i32 s60, s60, s61                                    // 000000002F28: 923C3D3C
	s_mov_b32 s90, s8                                          // 000000002F2C: BEDA0008
	s_mov_b32 s91, s9                                          // 000000002F30: BEDB0009
	s_add_u32 s8, s60, s8                                      // 000000002F34: 8008083C
	s_addc_u32 s9, 0, s9                                       // 000000002F38: 82090980
	v_lshrrev_b32_e32 v4, 4, v0                                // 000000002F3C: 20080084
	v_mul_lo_u32 v20, 34, v4                                   // 000000002F40: D2850014 000208A2
	v_and_b32_e32 v4, 15, v0                                   // 000000002F48: 2608008F
	v_mul_lo_u32 v5, 2, v4                                     // 000000002F4C: D2850005 00020882
	v_add_u32_e32 v20, v5, v20                                 // 000000002F54: 68282905
	s_mul_i32 s60, s7, 0x88                                    // 000000002F58: 923CFF07 00000088
	v_add_u32_e32 v20, s60, v20                                // 000000002F60: 6828283C
	v_lshlrev_b32_e32 v20, 2, v20                              // 000000002F64: 24282882
	v_and_b32_e32 v4, 31, v0                                   // 000000002F68: 2608009F
	v_lshrrev_b32_e32 v4, 1, v4                                // 000000002F6C: 20080881
	v_mul_lo_u32 v21, 34, v4                                   // 000000002F70: D2850015 000208A2
	v_lshrrev_b32_e32 v4, 5, v0                                // 000000002F78: 20080085
	v_mul_lo_u32 v4, 8, v4                                     // 000000002F7C: D2850004 00020888
	v_add_u32_e32 v21, v21, v4                                 // 000000002F84: 682A0915
	v_and_b32_e32 v5, 1, v0                                    // 000000002F88: 260A0081
	v_add_u32_e32 v21, v5, v21                                 // 000000002F8C: 682A2B05
	s_mul_i32 s60, s7, 2                                       // 000000002F90: 923C8207
	v_add_u32_e32 v21, s60, v21                                // 000000002F94: 682A2A3C
	v_lshlrev_b32_e32 v21, 2, v21                              // 000000002F98: 242A2A82
	s_mul_i32 s60, s7, 0x1220                                  // 000000002F9C: 923CFF07 00001220
	s_add_u32 s48, 0, s60                                      // 000000002FA4: 80303C80
	s_add_u32 s49, 0x4880, s48                                 // 000000002FA8: 803130FF 00004880
	v_lshrrev_b32_e32 v4, 4, v0                                // 000000002FB0: 20080084
	v_lshlrev_b32_e32 v5, 2, v4                                // 000000002FB4: 240A0882
	v_and_b32_e32 v4, 15, v0                                   // 000000002FB8: 2608008F
	v_lshrrev_b32_e32 v6, 2, v4                                // 000000002FBC: 200C0882
	v_lshlrev_b32_e32 v6, 5, v6                                // 000000002FC0: 240C0C85
	v_add_u32_e32 v5, v6, v5                                   // 000000002FC4: 680A0B06
	v_and_b32_e32 v4, 3, v0                                    // 000000002FC8: 26080083
	v_mul_u32_u24_e32 v6, 0x488, v4                            // 000000002FCC: 100C08FF 00000488
	v_add_u32_e32 v5, v6, v5                                   // 000000002FD4: 680A0B06
	v_lshlrev_b32_e32 v2, 2, v5                                // 000000002FD8: 24040A82
	s_waitcnt lgkmcnt(0)                                       // 000000002FDC: BF8CC07F
	s_mul_i32 s60, s2, 0x80                                    // 000000002FE0: 923CFF02 00000080
	s_mul_i32 s60, s60, s69                                    // 000000002FE8: 923C453C
	s_mul_i32 s61, s5, s72                                     // 000000002FEC: 923D4805
	s_add_u32 s60, s61, s60                                    // 000000002FF0: 803C3C3D
	s_add_u32 s24, s60, s24                                    // 000000002FF4: 8018183C
	s_addc_u32 s25, 0, s25                                     // 000000002FF8: 82191980
	s_lshr_b32 s60, s64, s88                                   // 000000002FFC: 8F3C5840
	s_mul_i32 s60, s4, s60                                     // 000000003000: 923C3C04
	s_lshr_b32 s60, s60, 7                                     // 000000003004: 8F3C873C
	s_mul_i32 s60, s60, 0x800                                  // 000000003008: 923CFF3C 00000800
	s_add_u32 s24, s60, s24                                    // 000000003010: 8018183C
	s_addc_u32 s25, 0, s25                                     // 000000003014: 82191980
	s_lshr_b32 s60, s69, s88                                   // 000000003018: 8F3C5845
	s_mul_i32 s60, s4, s60                                     // 00000000301C: 923C3C04
	s_add_u32 s20, s60, s20                                    // 000000003020: 8014143C
	s_addc_u32 s21, 0, s21                                     // 000000003024: 82151580
	s_mul_i32 s60, s7, 16                                      // 000000003028: 923C9007
	s_mul_i32 s60, s60, s69                                    // 00000000302C: 923C453C
	v_lshlrev_b32_e32 v82, 4, v0                               // 000000003030: 24A40084
	v_add_u32_e32 v82, s60, v82                                // 000000003034: 68A4A43C
	s_mul_i32 s60, 64, s69                                     // 000000003038: 923C45C0
	v_add_u32_e32 v83, s60, v82                                // 00000000303C: 68A6A43C
	s_mov_b32 s84, s24                                         // 000000003040: BED40018
	s_mov_b32 s85, s25                                         // 000000003044: BED50019
	s_mov_b32 s86, s26                                         // 000000003048: BED6001A
	s_mov_b32 s87, s27                                         // 00000000304C: BED7001B
	s_mul_i32 s60, s69, s65                                    // 000000003050: 923C4145
	s_add_u32 s84, s60, s84                                    // 000000003054: 8054543C
	s_addc_u32 s85, 0, s85                                     // 000000003058: 82555580
	v_lshrrev_b32_e32 v4, 4, v0                                // 00000000305C: 20080084
	v_lshlrev_b32_e32 v5, 2, v4                                // 000000003060: 240A0882
	v_and_b32_e32 v4, 15, v0                                   // 000000003064: 2608008F
	v_lshrrev_b32_e32 v6, 2, v4                                // 000000003068: 200C0882
	v_lshlrev_b32_e32 v6, 6, v6                                // 00000000306C: 240C0C86
	v_add_u32_e32 v5, v6, v5                                   // 000000003070: 680A0B06
	v_and_b32_e32 v4, 3, v0                                    // 000000003074: 26080083
	v_add_u32_e32 v5, v4, v5                                   // 000000003078: 680A0B04
	v_lshlrev_b32_e32 v22, 2, v5                               // 00000000307C: 242C0A82
	s_mul_i32 s60, s7, 16                                      // 000000003080: 923C9007
	s_mul_i32 s60, s60, 4                                      // 000000003084: 923C843C
	v_add_u32_e32 v22, s60, v22                                // 000000003088: 682C2C3C
	s_mul_i32 s60, s2, 0x80                                    // 00000000308C: 923CFF02 00000080
	s_mul_i32 s60, s60, 4                                      // 000000003094: 923C843C
	s_mul_i32 s61, s5, s74                                     // 000000003098: 923D4A05
	s_add_u32 s61, s61, s60                                    // 00000000309C: 803D3C3D
	s_add_u32 s32, s61, s32                                    // 0000000030A0: 8020203D
	s_addc_u32 s33, 0, s33                                     // 0000000030A4: 82212180
	s_mov_b32 s57, 0x80                                        // 0000000030A8: BEB900FF 00000080
	s_mov_b32 s58, 0x800                                       // 0000000030B0: BEBA00FF 00000800
	s_mov_b32 s83, s58                                         // 0000000030B8: BED3003A
	s_mov_b32 s52, 0x7060302                                   // 0000000030BC: BEB400FF 07060302
	s_mov_b32 s53, 0x400                                       // 0000000030C4: BEB500FF 00000400
	s_mov_b32 s54, 0x40100                                     // 0000000030CC: BEB600FF 00040100
	s_mov_b32 s55, 0x4020100                                   // 0000000030D4: BEB700FF 04020100
	s_mov_b32 s6, 0x3fb8aa3b                                   // 0000000030DC: BE8600FF 3FB8AA3B
	s_mov_b32 s78, 0xbd92220c                                  // 0000000030E4: BECE00FF BD92220C
	s_mov_b32 s79, 0xbd92220c                                  // 0000000030EC: BECF00FF BD92220C
	s_mov_b32 m0, s48                                          // 0000000030F4: BEFC0030
	v_mov_b32_e32 v1, 0xbfcc4231                               // 0000000030F8: 7E0202FF BFCC4231
	v_mov_b32_e32 v17, 0xffff0000                              // 000000003100: 7E2202FF FFFF0000
	v_mov_b32_e32 v18, 0x7fff0000                              // 000000003108: 7E2402FF 7FFF0000
	v_mov_b32_e32 v19, 0x7fff                                  // 000000003110: 7E2602FF 00007FFF
	s_waitcnt vmcnt(0) expcnt(0) lgkmcnt(0)                    // 000000003118: BF8C0000
	s_mul_i32 s60, s3, 0x90                                    // 00000000311C: 923CFF03 00000090
	s_mul_i32 s60, 4, s60                                      // 000000003124: 923C3C84
	s_add_u32 s40, s60, s40                                    // 000000003128: 8028283C
	s_addc_u32 s41, 0, s41                                     // 00000000312C: 82292980
	v_and_b32_e32 v4, 15, v0                                   // 000000003130: 2608008F
	v_lshlrev_b32_e32 v4, 2, v4                                // 000000003134: 24080882
	buffer_load_dword v228, v4, s[40:43], 0 offen              // 000000003138: E0501000 800AE404
	buffer_load_dword v229, v4, s[40:43], 0 offen offset:64    // 000000003140: E0501040 800AE504
	buffer_load_dword v230, v4, s[40:43], 0 offen offset:128   // 000000003148: E0501080 800AE604
	buffer_load_dword v231, v4, s[40:43], 0 offen offset:192   // 000000003150: E05010C0 800AE704
	buffer_load_dword v232, v4, s[40:43], 0 offen offset:256   // 000000003158: E0501100 800AE804
	buffer_load_dword v233, v4, s[40:43], 0 offen offset:320   // 000000003160: E0501140 800AE904
	buffer_load_dword v234, v4, s[40:43], 0 offen offset:384   // 000000003168: E0501180 800AEA04
	buffer_load_dword v235, v4, s[40:43], 0 offen offset:448   // 000000003170: E05011C0 800AEB04
	buffer_load_dword v236, v4, s[40:43], 0 offen offset:512   // 000000003178: E0501200 800AEC04
	v_lshrrev_b32_e32 v4, 5, v0                                // 000000003180: 20080085
	v_xor_b32_e32 v5, 1, v4                                    // 000000003184: 2A0A0881
	v_readlane_b32 s82, v3, 0                                  // 000000003188: D2890052 00010103
	s_and_b32 s82, s82, 0xffffff                               // 000000003190: 8652FF52 00FFFFFF
	v_mul_lo_u32 v6, v5, s82                                   // 000000003198: D2850006 0000A505
	v_readlane_b32 s82, v3, 1                                  // 0000000031A0: D2890052 00010303
	s_and_b32 s82, s82, 0xffffff                               // 0000000031A8: 8652FF52 00FFFFFF
	v_mul_lo_u32 v7, v4, s82                                   // 0000000031B0: D2850007 0000A504
	v_add_u32_e32 v64, v6, v7                                  // 0000000031B8: 68800F06
	v_mul_lo_u32 v64, v64, s68                                 // 0000000031BC: D2850040 00008940
	v_readlane_b32 s82, v3, 2                                  // 0000000031C4: D2890052 00010503
	s_and_b32 s82, s82, 0xffffff                               // 0000000031CC: 8652FF52 00FFFFFF
	v_mul_lo_u32 v6, v5, s82                                   // 0000000031D4: D2850006 0000A505
	v_readlane_b32 s82, v3, 3                                  // 0000000031DC: D2890052 00010703
	s_and_b32 s82, s82, 0xffffff                               // 0000000031E4: 8652FF52 00FFFFFF
	v_mul_lo_u32 v7, v4, s82                                   // 0000000031EC: D2850007 0000A504
	v_add_u32_e32 v65, v6, v7                                  // 0000000031F4: 68820F06
	v_mul_lo_u32 v65, v65, s68                                 // 0000000031F8: D2850041 00008941
	v_readlane_b32 s82, v3, 4                                  // 000000003200: D2890052 00010903
	s_and_b32 s82, s82, 0xffffff                               // 000000003208: 8652FF52 00FFFFFF
	v_mul_lo_u32 v6, v5, s82                                   // 000000003210: D2850006 0000A505
	v_readlane_b32 s82, v3, 5                                  // 000000003218: D2890052 00010B03
	s_and_b32 s82, s82, 0xffffff                               // 000000003220: 8652FF52 00FFFFFF
	v_mul_lo_u32 v7, v4, s82                                   // 000000003228: D2850007 0000A504
	v_add_u32_e32 v66, v6, v7                                  // 000000003230: 68840F06
	v_mul_lo_u32 v66, v66, s68                                 // 000000003234: D2850042 00008942
	v_readlane_b32 s82, v3, 6                                  // 00000000323C: D2890052 00010D03
	s_and_b32 s82, s82, 0xffffff                               // 000000003244: 8652FF52 00FFFFFF
	v_mul_lo_u32 v6, v5, s82                                   // 00000000324C: D2850006 0000A505
	v_readlane_b32 s82, v3, 7                                  // 000000003254: D2890052 00010F03
	s_and_b32 s82, s82, 0xffffff                               // 00000000325C: 8652FF52 00FFFFFF
	v_mul_lo_u32 v7, v4, s82                                   // 000000003264: D2850007 0000A504
	v_add_u32_e32 v67, v6, v7                                  // 00000000326C: 68860F06
	v_mul_lo_u32 v67, v67, s68                                 // 000000003270: D2850043 00008943
	v_readlane_b32 s82, v3, 8                                  // 000000003278: D2890052 00011103
	s_and_b32 s82, s82, 0xffffff                               // 000000003280: 8652FF52 00FFFFFF
	v_mul_lo_u32 v6, v5, s82                                   // 000000003288: D2850006 0000A505
	v_readlane_b32 s82, v3, 9                                  // 000000003290: D2890052 00011303
	s_and_b32 s82, s82, 0xffffff                               // 000000003298: 8652FF52 00FFFFFF
	v_mul_lo_u32 v7, v4, s82                                   // 0000000032A0: D2850007 0000A504
	v_add_u32_e32 v68, v6, v7                                  // 0000000032A8: 68880F06
	v_mul_lo_u32 v68, v68, s68                                 // 0000000032AC: D2850044 00008944
	v_readlane_b32 s82, v3, 10                                 // 0000000032B4: D2890052 00011503
	s_and_b32 s82, s82, 0xffffff                               // 0000000032BC: 8652FF52 00FFFFFF
	v_mul_lo_u32 v6, v5, s82                                   // 0000000032C4: D2850006 0000A505
	v_readlane_b32 s82, v3, 11                                 // 0000000032CC: D2890052 00011703
	s_and_b32 s82, s82, 0xffffff                               // 0000000032D4: 8652FF52 00FFFFFF
	v_mul_lo_u32 v7, v4, s82                                   // 0000000032DC: D2850007 0000A504
	v_add_u32_e32 v69, v6, v7                                  // 0000000032E4: 688A0F06
	v_mul_lo_u32 v69, v69, s68                                 // 0000000032E8: D2850045 00008945
	v_readlane_b32 s82, v3, 12                                 // 0000000032F0: D2890052 00011903
	s_and_b32 s82, s82, 0xffffff                               // 0000000032F8: 8652FF52 00FFFFFF
	v_mul_lo_u32 v6, v5, s82                                   // 000000003300: D2850006 0000A505
	v_readlane_b32 s82, v3, 13                                 // 000000003308: D2890052 00011B03
	s_and_b32 s82, s82, 0xffffff                               // 000000003310: 8652FF52 00FFFFFF
	v_mul_lo_u32 v7, v4, s82                                   // 000000003318: D2850007 0000A504
	v_add_u32_e32 v70, v6, v7                                  // 000000003320: 688C0F06
	v_mul_lo_u32 v70, v70, s68                                 // 000000003324: D2850046 00008946
	v_readlane_b32 s82, v3, 14                                 // 00000000332C: D2890052 00011D03
	s_and_b32 s82, s82, 0xffffff                               // 000000003334: 8652FF52 00FFFFFF
	v_mul_lo_u32 v6, v5, s82                                   // 00000000333C: D2850006 0000A505
	v_readlane_b32 s82, v3, 15                                 // 000000003344: D2890052 00011F03
	s_and_b32 s82, s82, 0xffffff                               // 00000000334C: 8652FF52 00FFFFFF
	v_mul_lo_u32 v7, v4, s82                                   // 000000003354: D2850007 0000A504
	v_add_u32_e32 v71, v6, v7                                  // 00000000335C: 688E0F06
	v_mul_lo_u32 v71, v71, s68                                 // 000000003360: D2850047 00008947
	v_readlane_b32 s82, v3, 16                                 // 000000003368: D2890052 00012103
	s_and_b32 s82, s82, 0xffffff                               // 000000003370: 8652FF52 00FFFFFF
	v_mul_lo_u32 v6, v5, s82                                   // 000000003378: D2850006 0000A505
	v_readlane_b32 s82, v3, 17                                 // 000000003380: D2890052 00012303
	s_and_b32 s82, s82, 0xffffff                               // 000000003388: 8652FF52 00FFFFFF
	v_mul_lo_u32 v7, v4, s82                                   // 000000003390: D2850007 0000A504
	v_add_u32_e32 v72, v6, v7                                  // 000000003398: 68900F06
	v_mul_lo_u32 v72, v72, s68                                 // 00000000339C: D2850048 00008948
	v_readlane_b32 s82, v3, 18                                 // 0000000033A4: D2890052 00012503
	s_and_b32 s82, s82, 0xffffff                               // 0000000033AC: 8652FF52 00FFFFFF
	v_mul_lo_u32 v6, v5, s82                                   // 0000000033B4: D2850006 0000A505
	v_readlane_b32 s82, v3, 19                                 // 0000000033BC: D2890052 00012703
	s_and_b32 s82, s82, 0xffffff                               // 0000000033C4: 8652FF52 00FFFFFF
	v_mul_lo_u32 v7, v4, s82                                   // 0000000033CC: D2850007 0000A504
	v_add_u32_e32 v73, v6, v7                                  // 0000000033D4: 68920F06
	v_mul_lo_u32 v73, v73, s68                                 // 0000000033D8: D2850049 00008949
	v_readlane_b32 s82, v3, 20                                 // 0000000033E0: D2890052 00012903
	s_and_b32 s82, s82, 0xffffff                               // 0000000033E8: 8652FF52 00FFFFFF
	v_mul_lo_u32 v6, v5, s82                                   // 0000000033F0: D2850006 0000A505
	v_readlane_b32 s82, v3, 21                                 // 0000000033F8: D2890052 00012B03
	s_and_b32 s82, s82, 0xffffff                               // 000000003400: 8652FF52 00FFFFFF
	v_mul_lo_u32 v7, v4, s82                                   // 000000003408: D2850007 0000A504
	v_add_u32_e32 v74, v6, v7                                  // 000000003410: 68940F06
	v_mul_lo_u32 v74, v74, s68                                 // 000000003414: D285004A 0000894A
	v_readlane_b32 s82, v3, 22                                 // 00000000341C: D2890052 00012D03
	s_and_b32 s82, s82, 0xffffff                               // 000000003424: 8652FF52 00FFFFFF
	v_mul_lo_u32 v6, v5, s82                                   // 00000000342C: D2850006 0000A505
	v_readlane_b32 s82, v3, 23                                 // 000000003434: D2890052 00012F03
	s_and_b32 s82, s82, 0xffffff                               // 00000000343C: 8652FF52 00FFFFFF
	v_mul_lo_u32 v7, v4, s82                                   // 000000003444: D2850007 0000A504
	v_add_u32_e32 v75, v6, v7                                  // 00000000344C: 68960F06
	v_mul_lo_u32 v75, v75, s68                                 // 000000003450: D285004B 0000894B
	v_readlane_b32 s82, v3, 24                                 // 000000003458: D2890052 00013103
	s_and_b32 s82, s82, 0xffffff                               // 000000003460: 8652FF52 00FFFFFF
	v_mul_lo_u32 v6, v5, s82                                   // 000000003468: D2850006 0000A505
	v_readlane_b32 s82, v3, 25                                 // 000000003470: D2890052 00013303
	s_and_b32 s82, s82, 0xffffff                               // 000000003478: 8652FF52 00FFFFFF
	v_mul_lo_u32 v7, v4, s82                                   // 000000003480: D2850007 0000A504
	v_add_u32_e32 v76, v6, v7                                  // 000000003488: 68980F06
	v_mul_lo_u32 v76, v76, s68                                 // 00000000348C: D285004C 0000894C
	v_readlane_b32 s82, v3, 26                                 // 000000003494: D2890052 00013503
	s_and_b32 s82, s82, 0xffffff                               // 00000000349C: 8652FF52 00FFFFFF
	v_mul_lo_u32 v6, v5, s82                                   // 0000000034A4: D2850006 0000A505
	v_readlane_b32 s82, v3, 27                                 // 0000000034AC: D2890052 00013703
	s_and_b32 s82, s82, 0xffffff                               // 0000000034B4: 8652FF52 00FFFFFF
	v_mul_lo_u32 v7, v4, s82                                   // 0000000034BC: D2850007 0000A504
	v_add_u32_e32 v77, v6, v7                                  // 0000000034C4: 689A0F06
	v_mul_lo_u32 v77, v77, s68                                 // 0000000034C8: D285004D 0000894D
	v_readlane_b32 s82, v3, 28                                 // 0000000034D0: D2890052 00013903
	s_and_b32 s82, s82, 0xffffff                               // 0000000034D8: 8652FF52 00FFFFFF
	v_mul_lo_u32 v6, v5, s82                                   // 0000000034E0: D2850006 0000A505
	v_readlane_b32 s82, v3, 29                                 // 0000000034E8: D2890052 00013B03
	s_and_b32 s82, s82, 0xffffff                               // 0000000034F0: 8652FF52 00FFFFFF
	v_mul_lo_u32 v7, v4, s82                                   // 0000000034F8: D2850007 0000A504
	v_add_u32_e32 v78, v6, v7                                  // 000000003500: 689C0F06
	v_mul_lo_u32 v78, v78, s68                                 // 000000003504: D285004E 0000894E
	v_readlane_b32 s82, v3, 30                                 // 00000000350C: D2890052 00013D03
	s_and_b32 s82, s82, 0xffffff                               // 000000003514: 8652FF52 00FFFFFF
	v_mul_lo_u32 v6, v5, s82                                   // 00000000351C: D2850006 0000A505
	v_readlane_b32 s82, v3, 31                                 // 000000003524: D2890052 00013F03
	s_and_b32 s82, s82, 0xffffff                               // 00000000352C: 8652FF52 00FFFFFF
	v_mul_lo_u32 v7, v4, s82                                   // 000000003534: D2850007 0000A504
	v_add_u32_e32 v79, v6, v7                                  // 00000000353C: 689E0F06
	v_mul_lo_u32 v79, v79, s68                                 // 000000003540: D285004F 0000894F
	v_readlane_b32 s82, v3, 32                                 // 000000003548: D2890052 00014103
	s_and_b32 s82, s82, 0xffffff                               // 000000003550: 8652FF52 00FFFFFF
	v_mul_lo_u32 v6, v5, s82                                   // 000000003558: D2850006 0000A505
	v_readlane_b32 s82, v3, 33                                 // 000000003560: D2890052 00014303
	s_and_b32 s82, s82, 0xffffff                               // 000000003568: 8652FF52 00FFFFFF
	v_mul_lo_u32 v7, v4, s82                                   // 000000003570: D2850007 0000A504
	v_add_u32_e32 v80, v6, v7                                  // 000000003578: 68A00F06
	v_mul_lo_u32 v80, v80, s68                                 // 00000000357C: D2850050 00008950
	v_readlane_b32 s82, v3, 34                                 // 000000003584: D2890052 00014503
	s_and_b32 s82, s82, 0xffffff                               // 00000000358C: 8652FF52 00FFFFFF
	v_mul_lo_u32 v6, v5, s82                                   // 000000003594: D2850006 0000A505
	v_readlane_b32 s82, v3, 35                                 // 00000000359C: D2890052 00014703
	s_and_b32 s82, s82, 0xffffff                               // 0000000035A4: 8652FF52 00FFFFFF
	v_mul_lo_u32 v7, v4, s82                                   // 0000000035AC: D2850007 0000A504
	v_add_u32_e32 v81, v6, v7                                  // 0000000035B4: 68A20F06
	v_mul_lo_u32 v81, v81, s68                                 // 0000000035B8: D2850051 00008951
	v_and_b32_e32 v4, 31, v0                                   // 0000000035C0: 2608009F
	v_lshlrev_b32_e32 v4, 2, v4                                // 0000000035C4: 24080882
	v_add_u32_e32 v64, v64, v4                                 // 0000000035C8: 68800940
	v_add_u32_e32 v65, v65, v4                                 // 0000000035CC: 68820941
	v_add_u32_e32 v66, v66, v4                                 // 0000000035D0: 68840942
	v_add_u32_e32 v67, v67, v4                                 // 0000000035D4: 68860943
	v_add_u32_e32 v68, v68, v4                                 // 0000000035D8: 68880944
	v_add_u32_e32 v69, v69, v4                                 // 0000000035DC: 688A0945
	v_add_u32_e32 v70, v70, v4                                 // 0000000035E0: 688C0946
	v_add_u32_e32 v71, v71, v4                                 // 0000000035E4: 688E0947
	v_add_u32_e32 v72, v72, v4                                 // 0000000035E8: 68900948
	v_add_u32_e32 v73, v73, v4                                 // 0000000035EC: 68920949
	v_add_u32_e32 v74, v74, v4                                 // 0000000035F0: 6894094A
	v_add_u32_e32 v75, v75, v4                                 // 0000000035F4: 6896094B
	v_add_u32_e32 v76, v76, v4                                 // 0000000035F8: 6898094C
	v_add_u32_e32 v77, v77, v4                                 // 0000000035FC: 689A094D
	v_add_u32_e32 v78, v78, v4                                 // 000000003600: 689C094E
	v_add_u32_e32 v79, v79, v4                                 // 000000003604: 689E094F
	v_add_u32_e32 v80, v80, v4                                 // 000000003608: 68A00950
	v_add_u32_e32 v81, v81, v4                                 // 00000000360C: 68A20951
	v_and_b32_e32 v28, 0xffffff, v28                           // 000000003610: 263838FF 00FFFFFF
	v_lshlrev_b32_e32 v28, 2, v28                              // 000000003618: 24383882
	v_and_b32_e32 v29, 0xffffff, v29                           // 00000000361C: 263A3AFF 00FFFFFF
	v_lshlrev_b32_e32 v29, 2, v29                              // 000000003624: 243A3A82
	v_and_b32_e32 v30, 0xffffff, v30                           // 000000003628: 263C3CFF 00FFFFFF
	v_lshlrev_b32_e32 v30, 2, v30                              // 000000003630: 243C3C82
	v_and_b32_e32 v31, 0xffffff, v31                           // 000000003634: 263E3EFF 00FFFFFF
	v_lshlrev_b32_e32 v31, 2, v31                              // 00000000363C: 243E3E82
	v_and_b32_e32 v32, 0xffffff, v32                           // 000000003640: 264040FF 00FFFFFF
	v_lshlrev_b32_e32 v32, 2, v32                              // 000000003648: 24404082
	v_and_b32_e32 v33, 0xffffff, v33                           // 00000000364C: 264242FF 00FFFFFF
	v_lshlrev_b32_e32 v33, 2, v33                              // 000000003654: 24424282
	v_and_b32_e32 v34, 0xffffff, v34                           // 000000003658: 264444FF 00FFFFFF
	v_lshlrev_b32_e32 v34, 2, v34                              // 000000003660: 24444482
	v_and_b32_e32 v35, 0xffffff, v35                           // 000000003664: 264646FF 00FFFFFF
	v_lshlrev_b32_e32 v35, 2, v35                              // 00000000366C: 24464682
	v_and_b32_e32 v36, 0xffffff, v36                           // 000000003670: 264848FF 00FFFFFF
	v_lshlrev_b32_e32 v36, 2, v36                              // 000000003678: 24484882
	s_lshl_b32 s3, s66, 2                                      // 00000000367C: 8E038242
	buffer_load_dword v37, v28, s[28:31], 0 offen              // 000000003680: E0501000 8007251C
	buffer_load_dword v38, v29, s[28:31], 0 offen              // 000000003688: E0501000 8007261D
	buffer_load_dword v39, v30, s[28:31], 0 offen              // 000000003690: E0501000 8007271E
	buffer_load_dword v40, v31, s[28:31], 0 offen              // 000000003698: E0501000 8007281F
	buffer_load_dword v41, v32, s[28:31], 0 offen              // 0000000036A0: E0501000 80072920
	buffer_load_dword v42, v33, s[28:31], 0 offen              // 0000000036A8: E0501000 80072A21
	buffer_load_dword v43, v34, s[28:31], 0 offen              // 0000000036B0: E0501000 80072B22
	buffer_load_dword v44, v35, s[28:31], 0 offen              // 0000000036B8: E0501000 80072C23
	buffer_load_dword v45, v36, s[28:31], 0 offen              // 0000000036C0: E0501000 80072D24
	buffer_load_dword v24, v22, s[32:35], 0 offen              // 0000000036C8: E0501000 80081816
	s_mul_i32 s60, 4, s65                                      // 0000000036D0: 923C4184
	s_add_u32 s32, s60, s32                                    // 0000000036D4: 8020203C
	s_addc_u32 s33, 0, s33                                     // 0000000036D8: 82212180
	buffer_load_dword v26, v22, s[32:35], 0 offen              // 0000000036DC: E0501000 80081A16
	buffer_load_dword v64, s[20:23], 0 offen lds               // 0000000036E4: E0511000 80050040
	s_add_u32 m0, 0x100, s48                                   // 0000000036EC: 807C30FF 00000100
	buffer_load_dword v65, s[20:23], 0 offen lds               // 0000000036F4: E0511000 80050041
	s_add_u32 m0, 0x200, s48                                   // 0000000036FC: 807C30FF 00000200
	buffer_load_dword v66, s[20:23], 0 offen lds               // 000000003704: E0511000 80050042
	s_add_u32 m0, 0x300, s48                                   // 00000000370C: 807C30FF 00000300
	buffer_load_dword v67, s[20:23], 0 offen lds               // 000000003714: E0511000 80050043
	s_add_u32 m0, 0x400, s48                                   // 00000000371C: 807C30FF 00000400
	buffer_load_dword v68, s[20:23], 0 offen lds               // 000000003724: E0511000 80050044
	s_add_u32 m0, 0x500, s48                                   // 00000000372C: 807C30FF 00000500
	buffer_load_dword v69, s[20:23], 0 offen lds               // 000000003734: E0511000 80050045
	s_add_u32 m0, 0x600, s48                                   // 00000000373C: 807C30FF 00000600
	buffer_load_dword v70, s[20:23], 0 offen lds               // 000000003744: E0511000 80050046
	s_add_u32 m0, 0x700, s48                                   // 00000000374C: 807C30FF 00000700
	buffer_load_dword v71, s[20:23], 0 offen lds               // 000000003754: E0511000 80050047
	s_add_u32 m0, 0x800, s48                                   // 00000000375C: 807C30FF 00000800
	buffer_load_dword v72, s[20:23], 0 offen lds               // 000000003764: E0511000 80050048
	s_add_u32 m0, 0x900, s48                                   // 00000000376C: 807C30FF 00000900
	buffer_load_dword v73, s[20:23], 0 offen lds               // 000000003774: E0511000 80050049
	s_add_u32 m0, 0xa00, s48                                   // 00000000377C: 807C30FF 00000A00
	buffer_load_dword v74, s[20:23], 0 offen lds               // 000000003784: E0511000 8005004A
	s_add_u32 m0, 0xb00, s48                                   // 00000000378C: 807C30FF 00000B00
	buffer_load_dword v75, s[20:23], 0 offen lds               // 000000003794: E0511000 8005004B
	s_add_u32 m0, 0xc00, s48                                   // 00000000379C: 807C30FF 00000C00
	buffer_load_dword v76, s[20:23], 0 offen lds               // 0000000037A4: E0511000 8005004C
	s_add_u32 m0, 0xd00, s48                                   // 0000000037AC: 807C30FF 00000D00
	buffer_load_dword v77, s[20:23], 0 offen lds               // 0000000037B4: E0511000 8005004D
	s_add_u32 m0, 0xe00, s48                                   // 0000000037BC: 807C30FF 00000E00
	buffer_load_dword v78, s[20:23], 0 offen lds               // 0000000037C4: E0511000 8005004E
	s_add_u32 m0, 0xf00, s48                                   // 0000000037CC: 807C30FF 00000F00
	buffer_load_dword v79, s[20:23], 0 offen lds               // 0000000037D4: E0511000 8005004F
	s_add_u32 m0, 0x1000, s48                                  // 0000000037DC: 807C30FF 00001000
	buffer_load_dword v80, s[20:23], 0 offen lds               // 0000000037E4: E0511000 80050050
	s_add_u32 m0, 0x1100, s48                                  // 0000000037EC: 807C30FF 00001100
	buffer_load_dword v81, s[20:23], 0 offen lds               // 0000000037F4: E0511000 80050051
	s_add_u32 m0, 0, s49                                       // 0000000037FC: 807C3180
	s_add_u32 s20, s57, s20                                    // 000000003800: 80141439
	s_addc_u32 s21, 0, s21                                     // 000000003804: 82151580
	buffer_load_dword v64, s[20:23], 0 offen lds               // 000000003808: E0511000 80050040
	s_add_u32 m0, 0x100, s49                                   // 000000003810: 807C31FF 00000100
	buffer_load_dword v65, s[20:23], 0 offen lds               // 000000003818: E0511000 80050041
	s_add_u32 m0, 0x200, s49                                   // 000000003820: 807C31FF 00000200
	;; [unrolled: 2-line block ×9, first 2 shown]
	buffer_load_dword v73, s[20:23], 0 offen lds               // 000000003898: E0511000 80050049
	s_add_u32 m0, 0xa00, s49                                   // 0000000038A0: 807C31FF 00000A00
	buffer_load_dword v74, s[20:23], 0 offen lds               // 0000000038A8: E0511000 8005004A
	s_add_u32 m0, 0xb00, s49                                   // 0000000038B0: 807C31FF 00000B00
	buffer_load_dword v75, s[20:23], 0 offen lds               // 0000000038B8: E0511000 8005004B
	s_add_u32 m0, 0xc00, s49                                   // 0000000038C0: 807C31FF 00000C00
	buffer_load_dword v76, s[20:23], 0 offen lds               // 0000000038C8: E0511000 8005004C
	s_add_u32 m0, 0xd00, s49                                   // 0000000038D0: 807C31FF 00000D00
	buffer_load_dword v77, s[20:23], 0 offen lds               // 0000000038D8: E0511000 8005004D
	s_add_u32 m0, 0xe00, s49                                   // 0000000038E0: 807C31FF 00000E00
	buffer_load_dword v78, s[20:23], 0 offen lds               // 0000000038E8: E0511000 8005004E
	s_add_u32 m0, 0xf00, s49                                   // 0000000038F0: 807C31FF 00000F00
	buffer_load_dword v79, s[20:23], 0 offen lds               // 0000000038F8: E0511000 8005004F
	s_add_u32 m0, 0x1000, s49                                  // 000000003900: 807C31FF 00001000
	buffer_load_dword v80, s[20:23], 0 offen lds               // 000000003908: E0511000 80050050
	s_add_u32 m0, 0x1100, s49                                  // 000000003910: 807C31FF 00001100
	buffer_load_dword v81, s[20:23], 0 offen lds               // 000000003918: E0511000 80050051
	s_add_u32 m0, 0, s48                                       // 000000003920: 807C3080
	s_add_u32 s20, s57, s20                                    // 000000003924: 80141439
	s_addc_u32 s21, 0, s21                                     // 000000003928: 82151580
	buffer_load_dwordx4 a[144:147], v82, s[24:27], 0 offen     // 00000000392C: E05C1000 80869052
	buffer_load_dwordx4 a[148:151], v82, s[24:27], 0 offen offset:1024// 000000003934: E05C1400 80869452
	buffer_load_dwordx4 a[152:155], v83, s[24:27], 0 offen     // 00000000393C: E05C1000 80869853
	buffer_load_dwordx4 a[156:159], v83, s[24:27], 0 offen offset:1024// 000000003944: E05C1400 80869C53
	s_add_u32 s24, s58, s24                                    // 00000000394C: 8018183A
	s_addc_u32 s25, 0, s25                                     // 000000003950: 82191980
	s_waitcnt vmcnt(22)                                        // 000000003954: BF8C4F76
	s_barrier                                                  // 000000003958: BF8A0000
	ds_read_b128 a[0:3], v2                                    // 00000000395C: DBFE0000 00000002
	ds_read_b128 a[4:7], v2 offset:64                          // 000000003964: DBFE0040 04000002
	ds_read_b128 a[8:11], v2 offset:512                        // 00000000396C: DBFE0200 08000002
	ds_read_b128 a[12:15], v2 offset:576                       // 000000003974: DBFE0240 0C000002
	ds_read_b128 a[16:19], v2 offset:1024                      // 00000000397C: DBFE0400 10000002
	ds_read_b128 a[20:23], v2 offset:1088                      // 000000003984: DBFE0440 14000002
	ds_read_b128 a[24:27], v2 offset:1536                      // 00000000398C: DBFE0600 18000002
	ds_read_b128 a[28:31], v2 offset:1600                      // 000000003994: DBFE0640 1C000002
	ds_read_b128 a[32:35], v2 offset:2048                      // 00000000399C: DBFE0800 20000002
	ds_read_b128 a[36:39], v2 offset:2112                      // 0000000039A4: DBFE0840 24000002
	ds_read_b128 a[40:43], v2 offset:2560                      // 0000000039AC: DBFE0A00 28000002
	ds_read_b128 a[44:47], v2 offset:2624                      // 0000000039B4: DBFE0A40 2C000002
	ds_read_b128 a[48:51], v2 offset:3072                      // 0000000039BC: DBFE0C00 30000002
	ds_read_b128 a[52:55], v2 offset:3136                      // 0000000039C4: DBFE0C40 34000002
	ds_read_b128 a[56:59], v2 offset:3584                      // 0000000039CC: DBFE0E00 38000002
	ds_read_b128 a[60:63], v2 offset:3648                      // 0000000039D4: DBFE0E40 3C000002
	ds_read_b128 a[64:67], v2 offset:4096                      // 0000000039DC: DBFE1000 40000002
	ds_read_b128 a[68:71], v2 offset:4160                      // 0000000039E4: DBFE1040 44000002
	s_cmp_lt_i32 s7, 2                                         // 0000000039EC: BF048207
	s_cbranch_scc0 label_1CC5                                  // 0000000039F0: BF8418C5

00000000000039f4 <label_03FD>:
	s_waitcnt vmcnt(2) lgkmcnt(0)                              // 0000000039F4: BF8C0072
	s_barrier                                                  // 0000000039F8: BF8A0000
	v_mfma_f32_16x16x32_fp8_fp8 v[84:87], a[144:145], a[0:1], v[84:87]// 0000000039FC: D3F30054 1D520190
	v_mfma_f32_16x16x32_fp8_fp8 v[84:87], a[146:147], a[2:3], v[84:87]// 000000003A04: D3F30054 1D520592
	buffer_load_dwordx4 a[160:163], v82, s[84:87], 0 offen     // 000000003A0C: E05C1000 8095A052
	v_mfma_f32_16x16x32_fp8_fp8 v[84:87], a[148:149], a[4:5], v[84:87]// 000000003A14: D3F30054 1D520994
	v_mfma_f32_16x16x32_fp8_fp8 v[84:87], a[150:151], a[6:7], v[84:87]// 000000003A1C: D3F30054 1D520D96
	v_mfma_f32_16x16x32_fp8_fp8 v[88:91], a[144:145], a[8:9], v[88:91]// 000000003A24: D3F30058 1D621190
	v_mfma_f32_16x16x32_fp8_fp8 v[88:91], a[146:147], a[10:11], v[88:91]// 000000003A2C: D3F30058 1D621592
	buffer_load_dwordx4 a[164:167], v82, s[84:87], 0 offen offset:1024// 000000003A34: E05C1400 8095A452
	v_mfma_f32_16x16x32_fp8_fp8 v[88:91], a[148:149], a[12:13], v[88:91]// 000000003A3C: D3F30058 1D621994
	v_mfma_f32_16x16x32_fp8_fp8 v[88:91], a[150:151], a[14:15], v[88:91]// 000000003A44: D3F30058 1D621D96
	v_mfma_f32_16x16x32_fp8_fp8 v[92:95], a[144:145], a[16:17], v[92:95]// 000000003A4C: D3F3005C 1D722190
	v_mfma_f32_16x16x32_fp8_fp8 v[92:95], a[146:147], a[18:19], v[92:95]// 000000003A54: D3F3005C 1D722592
	buffer_load_dwordx4 a[168:171], v83, s[84:87], 0 offen     // 000000003A5C: E05C1000 8095A853
	v_mfma_f32_16x16x32_fp8_fp8 v[92:95], a[148:149], a[20:21], v[92:95]// 000000003A64: D3F3005C 1D722994
	v_mfma_f32_16x16x32_fp8_fp8 v[92:95], a[150:151], a[22:23], v[92:95]// 000000003A6C: D3F3005C 1D722D96
	v_mfma_f32_16x16x32_fp8_fp8 v[96:99], a[144:145], a[24:25], v[96:99]// 000000003A74: D3F30060 1D823190
	v_mfma_f32_16x16x32_fp8_fp8 v[96:99], a[146:147], a[26:27], v[96:99]// 000000003A7C: D3F30060 1D823592
	buffer_load_dwordx4 a[172:175], v83, s[84:87], 0 offen offset:1024// 000000003A84: E05C1400 8095AC53
	buffer_load_dword v64, s[20:23], 0 offen lds               // 000000003A8C: E0511000 80050040
	s_add_u32 m0, 0x100, s48                                   // 000000003A94: 807C30FF 00000100
	v_mfma_f32_16x16x32_fp8_fp8 v[96:99], a[148:149], a[28:29], v[96:99]// 000000003A9C: D3F30060 1D823994
	v_mfma_f32_16x16x32_fp8_fp8 v[96:99], a[150:151], a[30:31], v[96:99]// 000000003AA4: D3F30060 1D823D96
	buffer_load_dword v65, s[20:23], 0 offen lds               // 000000003AAC: E0511000 80050041
	s_add_u32 m0, 0x200, s48                                   // 000000003AB4: 807C30FF 00000200
	v_mfma_f32_16x16x32_fp8_fp8 v[100:103], a[144:145], a[32:33], v[100:103]// 000000003ABC: D3F30064 1D924190
	v_mfma_f32_16x16x32_fp8_fp8 v[100:103], a[146:147], a[34:35], v[100:103]// 000000003AC4: D3F30064 1D924592
	buffer_load_dword v66, s[20:23], 0 offen lds               // 000000003ACC: E0511000 80050042
	s_add_u32 m0, 0x300, s48                                   // 000000003AD4: 807C30FF 00000300
	v_mfma_f32_16x16x32_fp8_fp8 v[100:103], a[148:149], a[36:37], v[100:103]// 000000003ADC: D3F30064 1D924994
	v_mfma_f32_16x16x32_fp8_fp8 v[100:103], a[150:151], a[38:39], v[100:103]// 000000003AE4: D3F30064 1D924D96
	buffer_load_dword v67, s[20:23], 0 offen lds               // 000000003AEC: E0511000 80050043
	s_add_u32 m0, 0x400, s48                                   // 000000003AF4: 807C30FF 00000400
	v_mfma_f32_16x16x32_fp8_fp8 v[104:107], a[144:145], a[40:41], v[104:107]// 000000003AFC: D3F30068 1DA25190
	v_mfma_f32_16x16x32_fp8_fp8 v[104:107], a[146:147], a[42:43], v[104:107]// 000000003B04: D3F30068 1DA25592
	buffer_load_dword v68, s[20:23], 0 offen lds               // 000000003B0C: E0511000 80050044
	s_add_u32 m0, 0x500, s48                                   // 000000003B14: 807C30FF 00000500
	v_mfma_f32_16x16x32_fp8_fp8 v[104:107], a[148:149], a[44:45], v[104:107]// 000000003B1C: D3F30068 1DA25994
	v_mfma_f32_16x16x32_fp8_fp8 v[104:107], a[150:151], a[46:47], v[104:107]// 000000003B24: D3F30068 1DA25D96
	buffer_load_dword v69, s[20:23], 0 offen lds               // 000000003B2C: E0511000 80050045
	s_add_u32 m0, 0x600, s48                                   // 000000003B34: 807C30FF 00000600
	v_mfma_f32_16x16x32_fp8_fp8 v[108:111], a[144:145], a[48:49], v[108:111]// 000000003B3C: D3F3006C 1DB26190
	v_mfma_f32_16x16x32_fp8_fp8 v[108:111], a[146:147], a[50:51], v[108:111]// 000000003B44: D3F3006C 1DB26592
	buffer_load_dword v70, s[20:23], 0 offen lds               // 000000003B4C: E0511000 80050046
	s_add_u32 m0, 0x700, s48                                   // 000000003B54: 807C30FF 00000700
	v_mfma_f32_16x16x32_fp8_fp8 v[108:111], a[148:149], a[52:53], v[108:111]// 000000003B5C: D3F3006C 1DB26994
	v_mfma_f32_16x16x32_fp8_fp8 v[108:111], a[150:151], a[54:55], v[108:111]// 000000003B64: D3F3006C 1DB26D96
	buffer_load_dword v71, s[20:23], 0 offen lds               // 000000003B6C: E0511000 80050047
	s_add_u32 m0, 0x800, s48                                   // 000000003B74: 807C30FF 00000800
	v_mfma_f32_16x16x32_fp8_fp8 v[112:115], a[144:145], a[56:57], v[112:115]// 000000003B7C: D3F30070 1DC27190
	v_mfma_f32_16x16x32_fp8_fp8 v[112:115], a[146:147], a[58:59], v[112:115]// 000000003B84: D3F30070 1DC27592
	buffer_load_dword v72, s[20:23], 0 offen lds               // 000000003B8C: E0511000 80050048
	s_add_u32 m0, 0x900, s48                                   // 000000003B94: 807C30FF 00000900
	v_mfma_f32_16x16x32_fp8_fp8 v[112:115], a[148:149], a[60:61], v[112:115]// 000000003B9C: D3F30070 1DC27994
	v_mfma_f32_16x16x32_fp8_fp8 v[112:115], a[150:151], a[62:63], v[112:115]// 000000003BA4: D3F30070 1DC27D96
	buffer_load_dword v73, s[20:23], 0 offen lds               // 000000003BAC: E0511000 80050049
	s_add_u32 m0, 0xa00, s48                                   // 000000003BB4: 807C30FF 00000A00
	v_mfma_f32_16x16x32_fp8_fp8 v[116:119], a[144:145], a[64:65], v[116:119]// 000000003BBC: D3F30074 1DD28190
	v_mfma_f32_16x16x32_fp8_fp8 v[116:119], a[146:147], a[66:67], v[116:119]// 000000003BC4: D3F30074 1DD28592
	buffer_load_dword v74, s[20:23], 0 offen lds               // 000000003BCC: E0511000 8005004A
	s_add_u32 m0, 0xb00, s48                                   // 000000003BD4: 807C30FF 00000B00
	v_mfma_f32_16x16x32_fp8_fp8 v[116:119], a[148:149], a[68:69], v[116:119]// 000000003BDC: D3F30074 1DD28994
	v_mfma_f32_16x16x32_fp8_fp8 v[116:119], a[150:151], a[70:71], v[116:119]// 000000003BE4: D3F30074 1DD28D96
	buffer_load_dword v75, s[20:23], 0 offen lds               // 000000003BEC: E0511000 8005004B
	s_add_u32 m0, 0xc00, s48                                   // 000000003BF4: 807C30FF 00000C00
	s_waitcnt vmcnt(16)                                        // 000000003BFC: BF8C4F70
	v_mfma_f32_16x16x32_fp8_fp8 v[120:123], a[152:153], a[0:1], v[120:123]// 000000003C00: D3F30078 1DE20198
	v_mfma_f32_16x16x32_fp8_fp8 v[120:123], a[154:155], a[2:3], v[120:123]// 000000003C08: D3F30078 1DE2059A
	buffer_load_dword v76, s[20:23], 0 offen lds               // 000000003C10: E0511000 8005004C
	s_add_u32 m0, 0xd00, s48                                   // 000000003C18: 807C30FF 00000D00
	v_mfma_f32_16x16x32_fp8_fp8 v[120:123], a[156:157], a[4:5], v[120:123]// 000000003C20: D3F30078 1DE2099C
	v_mfma_f32_16x16x32_fp8_fp8 v[120:123], a[158:159], a[6:7], v[120:123]// 000000003C28: D3F30078 1DE20D9E
	buffer_load_dword v77, s[20:23], 0 offen lds               // 000000003C30: E0511000 8005004D
	s_add_u32 m0, 0xe00, s48                                   // 000000003C38: 807C30FF 00000E00
	v_mfma_f32_16x16x32_fp8_fp8 v[124:127], a[152:153], a[8:9], v[124:127]// 000000003C40: D3F3007C 1DF21198
	v_mfma_f32_16x16x32_fp8_fp8 v[124:127], a[154:155], a[10:11], v[124:127]// 000000003C48: D3F3007C 1DF2159A
	buffer_load_dword v78, s[20:23], 0 offen lds               // 000000003C50: E0511000 8005004E
	s_add_u32 m0, 0xf00, s48                                   // 000000003C58: 807C30FF 00000F00
	v_mfma_f32_16x16x32_fp8_fp8 v[124:127], a[156:157], a[12:13], v[124:127]// 000000003C60: D3F3007C 1DF2199C
	v_mfma_f32_16x16x32_fp8_fp8 v[124:127], a[158:159], a[14:15], v[124:127]// 000000003C68: D3F3007C 1DF21D9E
	buffer_load_dword v79, s[20:23], 0 offen lds               // 000000003C70: E0511000 8005004F
	s_add_u32 m0, 0x1000, s48                                  // 000000003C78: 807C30FF 00001000
	v_mfma_f32_16x16x32_fp8_fp8 v[128:131], a[152:153], a[16:17], v[128:131]// 000000003C80: D3F30080 1E022198
	v_mfma_f32_16x16x32_fp8_fp8 v[128:131], a[154:155], a[18:19], v[128:131]// 000000003C88: D3F30080 1E02259A
	buffer_load_dword v80, s[20:23], 0 offen lds               // 000000003C90: E0511000 80050050
	s_add_u32 m0, 0x1100, s48                                  // 000000003C98: 807C30FF 00001100
	v_mfma_f32_16x16x32_fp8_fp8 v[128:131], a[156:157], a[20:21], v[128:131]// 000000003CA0: D3F30080 1E02299C
	v_mfma_f32_16x16x32_fp8_fp8 v[128:131], a[158:159], a[22:23], v[128:131]// 000000003CA8: D3F30080 1E022D9E
	buffer_load_dword v81, s[20:23], 0 offen lds               // 000000003CB0: E0511000 80050051
	s_add_u32 m0, 0, s49                                       // 000000003CB8: 807C3180
	v_mfma_f32_16x16x32_fp8_fp8 v[132:135], a[152:153], a[24:25], v[132:135]// 000000003CBC: D3F30084 1E123198
	v_mfma_f32_16x16x32_fp8_fp8 v[132:135], a[154:155], a[26:27], v[132:135]// 000000003CC4: D3F30084 1E12359A
	v_mfma_f32_16x16x32_fp8_fp8 v[132:135], a[156:157], a[28:29], v[132:135]// 000000003CCC: D3F30084 1E12399C
	v_mfma_f32_16x16x32_fp8_fp8 v[132:135], a[158:159], a[30:31], v[132:135]// 000000003CD4: D3F30084 1E123D9E
	v_mfma_f32_16x16x32_fp8_fp8 v[136:139], a[152:153], a[32:33], v[136:139]// 000000003CDC: D3F30088 1E224198
	v_mfma_f32_16x16x32_fp8_fp8 v[136:139], a[154:155], a[34:35], v[136:139]// 000000003CE4: D3F30088 1E22459A
	v_mfma_f32_16x16x32_fp8_fp8 v[136:139], a[156:157], a[36:37], v[136:139]// 000000003CEC: D3F30088 1E22499C
	v_mfma_f32_16x16x32_fp8_fp8 v[136:139], a[158:159], a[38:39], v[136:139]// 000000003CF4: D3F30088 1E224D9E
	v_mfma_f32_16x16x32_fp8_fp8 v[140:143], a[152:153], a[40:41], v[140:143]// 000000003CFC: D3F3008C 1E325198
	v_mfma_f32_16x16x32_fp8_fp8 v[140:143], a[154:155], a[42:43], v[140:143]// 000000003D04: D3F3008C 1E32559A
	v_mfma_f32_16x16x32_fp8_fp8 v[140:143], a[156:157], a[44:45], v[140:143]// 000000003D0C: D3F3008C 1E32599C
	v_mfma_f32_16x16x32_fp8_fp8 v[140:143], a[158:159], a[46:47], v[140:143]// 000000003D14: D3F3008C 1E325D9E
	v_mfma_f32_16x16x32_fp8_fp8 v[144:147], a[152:153], a[48:49], v[144:147]// 000000003D1C: D3F30090 1E426198
	v_mfma_f32_16x16x32_fp8_fp8 v[144:147], a[154:155], a[50:51], v[144:147]// 000000003D24: D3F30090 1E42659A
	v_mfma_f32_16x16x32_fp8_fp8 v[144:147], a[156:157], a[52:53], v[144:147]// 000000003D2C: D3F30090 1E42699C
	v_mfma_f32_16x16x32_fp8_fp8 v[144:147], a[158:159], a[54:55], v[144:147]// 000000003D34: D3F30090 1E426D9E
	v_mfma_f32_16x16x32_fp8_fp8 v[148:151], a[152:153], a[56:57], v[148:151]// 000000003D3C: D3F30094 1E527198
	v_mfma_f32_16x16x32_fp8_fp8 v[148:151], a[154:155], a[58:59], v[148:151]// 000000003D44: D3F30094 1E52759A
	v_mfma_f32_16x16x32_fp8_fp8 v[148:151], a[156:157], a[60:61], v[148:151]// 000000003D4C: D3F30094 1E52799C
	v_mfma_f32_16x16x32_fp8_fp8 v[148:151], a[158:159], a[62:63], v[148:151]// 000000003D54: D3F30094 1E527D9E
	v_mfma_f32_16x16x32_fp8_fp8 v[152:155], a[152:153], a[64:65], v[152:155]// 000000003D5C: D3F30098 1E628198
	v_mfma_f32_16x16x32_fp8_fp8 v[152:155], a[154:155], a[66:67], v[152:155]// 000000003D64: D3F30098 1E62859A
	s_add_u32 s60, 0x80, s80                                   // 000000003D6C: 803C50FF 00000080
	s_cmp_lt_u32 s60, s81                                      // 000000003D74: BF0A513C
	s_cselect_b32 s83, s83, 0                                  // 000000003D78: 85538053
	v_mfma_f32_16x16x32_fp8_fp8 v[152:155], a[156:157], a[68:69], v[152:155]// 000000003D7C: D3F30098 1E62899C
	v_mfma_f32_16x16x32_fp8_fp8 v[152:155], a[158:159], a[70:71], v[152:155]// 000000003D84: D3F30098 1E628D9E
	s_waitcnt vmcnt(18)                                        // 000000003D8C: BF8C4F72
	v_mfma_f32_16x16x32_fp8_fp8 v[156:159], a[160:161], a[0:1], v[156:159]// 000000003D90: D3F3009C 1E7201A0
	v_mfma_f32_16x16x32_fp8_fp8 v[156:159], a[162:163], a[2:3], v[156:159]// 000000003D98: D3F3009C 1E7205A2
	buffer_load_dwordx4 a[144:147], v82, s[24:27], 0 offen     // 000000003DA0: E05C1000 80869052
	v_mfma_f32_16x16x32_fp8_fp8 v[156:159], a[164:165], a[4:5], v[156:159]// 000000003DA8: D3F3009C 1E7209A4
	v_mfma_f32_16x16x32_fp8_fp8 v[156:159], a[166:167], a[6:7], v[156:159]// 000000003DB0: D3F3009C 1E720DA6
	ds_read_b128 a[72:75], v2 offset:18560                     // 000000003DB8: DBFE4880 48000002
	ds_read_b128 a[76:79], v2 offset:18624                     // 000000003DC0: DBFE48C0 4C000002
	v_mfma_f32_16x16x32_fp8_fp8 v[192:195], a[168:169], a[0:1], v[192:195]// 000000003DC8: D3F300C0 1F0201A8
	v_mfma_f32_16x16x32_fp8_fp8 v[192:195], a[170:171], a[2:3], v[192:195]// 000000003DD0: D3F300C0 1F0205AA
	buffer_load_dwordx4 a[148:151], v82, s[24:27], 0 offen offset:1024// 000000003DD8: E05C1400 80869452
	v_mfma_f32_16x16x32_fp8_fp8 v[192:195], a[172:173], a[4:5], v[192:195]// 000000003DE0: D3F300C0 1F0209AC
	v_mfma_f32_16x16x32_fp8_fp8 v[192:195], a[174:175], a[6:7], v[192:195]// 000000003DE8: D3F300C0 1F020DAE
	ds_read_b128 a[80:83], v2 offset:19072                     // 000000003DF0: DBFE4A80 50000002
	ds_read_b128 a[84:87], v2 offset:19136                     // 000000003DF8: DBFE4AC0 54000002
	v_mfma_f32_16x16x32_fp8_fp8 v[160:163], a[160:161], a[8:9], v[160:163]// 000000003E00: D3F300A0 1E8211A0
	v_mfma_f32_16x16x32_fp8_fp8 v[160:163], a[162:163], a[10:11], v[160:163]// 000000003E08: D3F300A0 1E8215A2
	buffer_load_dwordx4 a[152:155], v83, s[24:27], 0 offen     // 000000003E10: E05C1000 80869853
	v_mfma_f32_16x16x32_fp8_fp8 v[160:163], a[164:165], a[12:13], v[160:163]// 000000003E18: D3F300A0 1E8219A4
	v_mfma_f32_16x16x32_fp8_fp8 v[160:163], a[166:167], a[14:15], v[160:163]// 000000003E20: D3F300A0 1E821DA6
	ds_read_b128 a[88:91], v2 offset:19584                     // 000000003E28: DBFE4C80 58000002
	ds_read_b128 a[92:95], v2 offset:19648                     // 000000003E30: DBFE4CC0 5C000002
	v_mfma_f32_16x16x32_fp8_fp8 v[196:199], a[168:169], a[8:9], v[196:199]// 000000003E38: D3F300C4 1F1211A8
	v_mfma_f32_16x16x32_fp8_fp8 v[196:199], a[170:171], a[10:11], v[196:199]// 000000003E40: D3F300C4 1F1215AA
	buffer_load_dwordx4 a[156:159], v83, s[24:27], 0 offen offset:1024// 000000003E48: E05C1400 80869C53
	v_mfma_f32_16x16x32_fp8_fp8 v[196:199], a[172:173], a[12:13], v[196:199]// 000000003E50: D3F300C4 1F1219AC
	v_mfma_f32_16x16x32_fp8_fp8 v[196:199], a[174:175], a[14:15], v[196:199]// 000000003E58: D3F300C4 1F121DAE
	ds_read_b128 a[96:99], v2 offset:20096                     // 000000003E60: DBFE4E80 60000002
	ds_read_b128 a[100:103], v2 offset:20160                   // 000000003E68: DBFE4EC0 64000002
	v_mfma_f32_16x16x32_fp8_fp8 v[164:167], a[160:161], a[16:17], v[164:167]// 000000003E70: D3F300A4 1E9221A0
	v_mfma_f32_16x16x32_fp8_fp8 v[164:167], a[162:163], a[18:19], v[164:167]// 000000003E78: D3F300A4 1E9225A2
	v_mfma_f32_16x16x32_fp8_fp8 v[164:167], a[164:165], a[20:21], v[164:167]// 000000003E80: D3F300A4 1E9229A4
	v_mfma_f32_16x16x32_fp8_fp8 v[164:167], a[166:167], a[22:23], v[164:167]// 000000003E88: D3F300A4 1E922DA6
	ds_read_b128 a[104:107], v2 offset:20608                   // 000000003E90: DBFE5080 68000002
	ds_read_b128 a[108:111], v2 offset:20672                   // 000000003E98: DBFE50C0 6C000002
	v_mfma_f32_16x16x32_fp8_fp8 v[200:203], a[168:169], a[16:17], v[200:203]// 000000003EA0: D3F300C8 1F2221A8
	v_mfma_f32_16x16x32_fp8_fp8 v[200:203], a[170:171], a[18:19], v[200:203]// 000000003EA8: D3F300C8 1F2225AA
	v_mfma_f32_16x16x32_fp8_fp8 v[200:203], a[172:173], a[20:21], v[200:203]// 000000003EB0: D3F300C8 1F2229AC
	v_mfma_f32_16x16x32_fp8_fp8 v[200:203], a[174:175], a[22:23], v[200:203]// 000000003EB8: D3F300C8 1F222DAE
	ds_read_b128 a[112:115], v2 offset:21120                   // 000000003EC0: DBFE5280 70000002
	ds_read_b128 a[116:119], v2 offset:21184                   // 000000003EC8: DBFE52C0 74000002
	v_mfma_f32_16x16x32_fp8_fp8 v[168:171], a[160:161], a[24:25], v[168:171]// 000000003ED0: D3F300A8 1EA231A0
	v_mfma_f32_16x16x32_fp8_fp8 v[168:171], a[162:163], a[26:27], v[168:171]// 000000003ED8: D3F300A8 1EA235A2
	v_mfma_f32_16x16x32_fp8_fp8 v[168:171], a[164:165], a[28:29], v[168:171]// 000000003EE0: D3F300A8 1EA239A4
	v_mfma_f32_16x16x32_fp8_fp8 v[168:171], a[166:167], a[30:31], v[168:171]// 000000003EE8: D3F300A8 1EA23DA6
	ds_read_b128 a[120:123], v2 offset:21632                   // 000000003EF0: DBFE5480 78000002
	ds_read_b128 a[124:127], v2 offset:21696                   // 000000003EF8: DBFE54C0 7C000002
	v_mfma_f32_16x16x32_fp8_fp8 v[204:207], a[168:169], a[24:25], v[204:207]// 000000003F00: D3F300CC 1F3231A8
	v_mfma_f32_16x16x32_fp8_fp8 v[204:207], a[170:171], a[26:27], v[204:207]// 000000003F08: D3F300CC 1F3235AA
	v_mfma_f32_16x16x32_fp8_fp8 v[204:207], a[172:173], a[28:29], v[204:207]// 000000003F10: D3F300CC 1F3239AC
	v_mfma_f32_16x16x32_fp8_fp8 v[204:207], a[174:175], a[30:31], v[204:207]// 000000003F18: D3F300CC 1F323DAE
	ds_read_b128 a[128:131], v2 offset:22144                   // 000000003F20: DBFE5680 80000002
	ds_read_b128 a[132:135], v2 offset:22208                   // 000000003F28: DBFE56C0 84000002
	v_mfma_f32_16x16x32_fp8_fp8 v[172:175], a[160:161], a[32:33], v[172:175]// 000000003F30: D3F300AC 1EB241A0
	v_mfma_f32_16x16x32_fp8_fp8 v[172:175], a[162:163], a[34:35], v[172:175]// 000000003F38: D3F300AC 1EB245A2
	v_mfma_f32_16x16x32_fp8_fp8 v[172:175], a[164:165], a[36:37], v[172:175]// 000000003F40: D3F300AC 1EB249A4
	v_mfma_f32_16x16x32_fp8_fp8 v[172:175], a[166:167], a[38:39], v[172:175]// 000000003F48: D3F300AC 1EB24DA6
	ds_read_b128 a[136:139], v2 offset:22656                   // 000000003F50: DBFE5880 88000002
	ds_read_b128 a[140:143], v2 offset:22720                   // 000000003F58: DBFE58C0 8C000002
	v_mfma_f32_16x16x32_fp8_fp8 v[208:211], a[168:169], a[32:33], v[208:211]// 000000003F60: D3F300D0 1F4241A8
	v_mfma_f32_16x16x32_fp8_fp8 v[208:211], a[170:171], a[34:35], v[208:211]// 000000003F68: D3F300D0 1F4245AA
	v_mfma_f32_16x16x32_fp8_fp8 v[208:211], a[172:173], a[36:37], v[208:211]// 000000003F70: D3F300D0 1F4249AC
	v_mfma_f32_16x16x32_fp8_fp8 v[208:211], a[174:175], a[38:39], v[208:211]// 000000003F78: D3F300D0 1F424DAE
	v_mfma_f32_16x16x32_fp8_fp8 v[176:179], a[160:161], a[40:41], v[176:179]// 000000003F80: D3F300B0 1EC251A0
	v_mfma_f32_16x16x32_fp8_fp8 v[176:179], a[162:163], a[42:43], v[176:179]// 000000003F88: D3F300B0 1EC255A2
	v_mfma_f32_16x16x32_fp8_fp8 v[176:179], a[164:165], a[44:45], v[176:179]// 000000003F90: D3F300B0 1EC259A4
	v_mfma_f32_16x16x32_fp8_fp8 v[176:179], a[166:167], a[46:47], v[176:179]// 000000003F98: D3F300B0 1EC25DA6
	v_mfma_f32_16x16x32_fp8_fp8 v[212:215], a[168:169], a[40:41], v[212:215]// 000000003FA0: D3F300D4 1F5251A8
	v_mfma_f32_16x16x32_fp8_fp8 v[212:215], a[170:171], a[42:43], v[212:215]// 000000003FA8: D3F300D4 1F5255AA
	v_mfma_f32_16x16x32_fp8_fp8 v[212:215], a[172:173], a[44:45], v[212:215]// 000000003FB0: D3F300D4 1F5259AC
	v_mfma_f32_16x16x32_fp8_fp8 v[212:215], a[174:175], a[46:47], v[212:215]// 000000003FB8: D3F300D4 1F525DAE
	v_mfma_f32_16x16x32_fp8_fp8 v[180:183], a[160:161], a[48:49], v[180:183]// 000000003FC0: D3F300B4 1ED261A0
	v_mfma_f32_16x16x32_fp8_fp8 v[180:183], a[162:163], a[50:51], v[180:183]// 000000003FC8: D3F300B4 1ED265A2
	v_mfma_f32_16x16x32_fp8_fp8 v[180:183], a[164:165], a[52:53], v[180:183]// 000000003FD0: D3F300B4 1ED269A4
	v_mfma_f32_16x16x32_fp8_fp8 v[180:183], a[166:167], a[54:55], v[180:183]// 000000003FD8: D3F300B4 1ED26DA6
	v_mfma_f32_16x16x32_fp8_fp8 v[216:219], a[168:169], a[48:49], v[216:219]// 000000003FE0: D3F300D8 1F6261A8
	v_mfma_f32_16x16x32_fp8_fp8 v[216:219], a[170:171], a[50:51], v[216:219]// 000000003FE8: D3F300D8 1F6265AA
	v_mfma_f32_16x16x32_fp8_fp8 v[216:219], a[172:173], a[52:53], v[216:219]// 000000003FF0: D3F300D8 1F6269AC
	v_mfma_f32_16x16x32_fp8_fp8 v[216:219], a[174:175], a[54:55], v[216:219]// 000000003FF8: D3F300D8 1F626DAE
	v_mfma_f32_16x16x32_fp8_fp8 v[184:187], a[160:161], a[56:57], v[184:187]// 000000004000: D3F300B8 1EE271A0
	v_mfma_f32_16x16x32_fp8_fp8 v[184:187], a[162:163], a[58:59], v[184:187]// 000000004008: D3F300B8 1EE275A2
	v_mfma_f32_16x16x32_fp8_fp8 v[184:187], a[164:165], a[60:61], v[184:187]// 000000004010: D3F300B8 1EE279A4
	v_mfma_f32_16x16x32_fp8_fp8 v[184:187], a[166:167], a[62:63], v[184:187]// 000000004018: D3F300B8 1EE27DA6
	v_mfma_f32_16x16x32_fp8_fp8 v[220:223], a[168:169], a[56:57], v[220:223]// 000000004020: D3F300DC 1F7271A8
	v_mfma_f32_16x16x32_fp8_fp8 v[220:223], a[170:171], a[58:59], v[220:223]// 000000004028: D3F300DC 1F7275AA
	v_mfma_f32_16x16x32_fp8_fp8 v[220:223], a[172:173], a[60:61], v[220:223]// 000000004030: D3F300DC 1F7279AC
	v_mfma_f32_16x16x32_fp8_fp8 v[220:223], a[174:175], a[62:63], v[220:223]// 000000004038: D3F300DC 1F727DAE
	v_mfma_f32_16x16x32_fp8_fp8 v[188:191], a[160:161], a[64:65], v[188:191]// 000000004040: D3F300BC 1EF281A0
	v_mfma_f32_16x16x32_fp8_fp8 v[188:191], a[162:163], a[66:67], v[188:191]// 000000004048: D3F300BC 1EF285A2
	v_mfma_f32_16x16x32_fp8_fp8 v[188:191], a[164:165], a[68:69], v[188:191]// 000000004050: D3F300BC 1EF289A4
	s_add_u32 s60, 0x180, s80                                  // 000000004058: 803C50FF 00000180
	s_cmp_lt_u32 s60, s81                                      // 000000004060: BF0A513C
	s_cselect_b32 s57, s57, 0                                  // 000000004064: 85398039
	v_mfma_f32_16x16x32_fp8_fp8 v[188:191], a[166:167], a[70:71], v[188:191]// 000000004068: D3F300BC 1EF28DA6
	s_add_u32 s60, 0x100, s80                                  // 000000004070: 803C50FF 00000100
	s_cmp_lt_u32 s60, s81                                      // 000000004078: BF0A513C
	s_cselect_b32 s58, s58, 0                                  // 00000000407C: 853A803A
	v_mfma_f32_16x16x32_fp8_fp8 v[224:227], a[168:169], a[64:65], v[224:227]// 000000004080: D3F300E0 1F8281A8
	s_add_u32 s24, s58, s24                                    // 000000004088: 8018183A
	s_addc_u32 s25, 0, s25                                     // 00000000408C: 82191980
	v_mfma_f32_16x16x32_fp8_fp8 v[224:227], a[170:171], a[66:67], v[224:227]// 000000004090: D3F300E0 1F8285AA
	s_add_u32 s20, s57, s20                                    // 000000004098: 80141439
	s_addc_u32 s21, 0, s21                                     // 00000000409C: 82151580
	v_mfma_f32_16x16x32_fp8_fp8 v[224:227], a[172:173], a[68:69], v[224:227]// 0000000040A0: D3F300E0 1F8289AC
	s_add_u32 s84, s83, s84                                    // 0000000040A8: 80545453
	s_addc_u32 s85, 0, s85                                     // 0000000040AC: 82555580
	v_mfma_f32_16x16x32_fp8_fp8 v[224:227], a[174:175], a[70:71], v[224:227]// 0000000040B0: D3F300E0 1F828DAE
	s_addk_i32 s80, 0x80                                       // 0000000040B8: B7500080
	s_cmp_lt_i32 s80, s81                                      // 0000000040BC: BF045150
	s_cbranch_scc0 label_0766                                  // 0000000040C0: BF8401B5
	s_waitcnt vmcnt(2) lgkmcnt(0)                              // 0000000040C4: BF8C0072
	s_barrier                                                  // 0000000040C8: BF8A0000
	v_mfma_f32_16x16x32_fp8_fp8 v[84:87], a[144:145], a[72:73], v[84:87]// 0000000040CC: D3F30054 1D529190
	v_mfma_f32_16x16x32_fp8_fp8 v[84:87], a[146:147], a[74:75], v[84:87]// 0000000040D4: D3F30054 1D529592
	buffer_load_dwordx4 a[160:163], v82, s[84:87], 0 offen     // 0000000040DC: E05C1000 8095A052
	v_mfma_f32_16x16x32_fp8_fp8 v[84:87], a[148:149], a[76:77], v[84:87]// 0000000040E4: D3F30054 1D529994
	v_mfma_f32_16x16x32_fp8_fp8 v[84:87], a[150:151], a[78:79], v[84:87]// 0000000040EC: D3F30054 1D529D96
	v_mfma_f32_16x16x32_fp8_fp8 v[88:91], a[144:145], a[80:81], v[88:91]// 0000000040F4: D3F30058 1D62A190
	v_mfma_f32_16x16x32_fp8_fp8 v[88:91], a[146:147], a[82:83], v[88:91]// 0000000040FC: D3F30058 1D62A592
	buffer_load_dwordx4 a[164:167], v82, s[84:87], 0 offen offset:1024// 000000004104: E05C1400 8095A452
	v_mfma_f32_16x16x32_fp8_fp8 v[88:91], a[148:149], a[84:85], v[88:91]// 00000000410C: D3F30058 1D62A994
	v_mfma_f32_16x16x32_fp8_fp8 v[88:91], a[150:151], a[86:87], v[88:91]// 000000004114: D3F30058 1D62AD96
	v_mfma_f32_16x16x32_fp8_fp8 v[92:95], a[144:145], a[88:89], v[92:95]// 00000000411C: D3F3005C 1D72B190
	v_mfma_f32_16x16x32_fp8_fp8 v[92:95], a[146:147], a[90:91], v[92:95]// 000000004124: D3F3005C 1D72B592
	buffer_load_dwordx4 a[168:171], v83, s[84:87], 0 offen     // 00000000412C: E05C1000 8095A853
	v_mfma_f32_16x16x32_fp8_fp8 v[92:95], a[148:149], a[92:93], v[92:95]// 000000004134: D3F3005C 1D72B994
	v_mfma_f32_16x16x32_fp8_fp8 v[92:95], a[150:151], a[94:95], v[92:95]// 00000000413C: D3F3005C 1D72BD96
	v_mfma_f32_16x16x32_fp8_fp8 v[96:99], a[144:145], a[96:97], v[96:99]// 000000004144: D3F30060 1D82C190
	v_mfma_f32_16x16x32_fp8_fp8 v[96:99], a[146:147], a[98:99], v[96:99]// 00000000414C: D3F30060 1D82C592
	buffer_load_dwordx4 a[172:175], v83, s[84:87], 0 offen offset:1024// 000000004154: E05C1400 8095AC53
	buffer_load_dword v64, s[20:23], 0 offen lds               // 00000000415C: E0511000 80050040
	s_add_u32 m0, 0x100, s49                                   // 000000004164: 807C31FF 00000100
	v_mfma_f32_16x16x32_fp8_fp8 v[96:99], a[148:149], a[100:101], v[96:99]// 00000000416C: D3F30060 1D82C994
	v_mfma_f32_16x16x32_fp8_fp8 v[96:99], a[150:151], a[102:103], v[96:99]// 000000004174: D3F30060 1D82CD96
	buffer_load_dword v65, s[20:23], 0 offen lds               // 00000000417C: E0511000 80050041
	s_add_u32 m0, 0x200, s49                                   // 000000004184: 807C31FF 00000200
	v_mfma_f32_16x16x32_fp8_fp8 v[100:103], a[144:145], a[104:105], v[100:103]// 00000000418C: D3F30064 1D92D190
	v_mfma_f32_16x16x32_fp8_fp8 v[100:103], a[146:147], a[106:107], v[100:103]// 000000004194: D3F30064 1D92D592
	buffer_load_dword v66, s[20:23], 0 offen lds               // 00000000419C: E0511000 80050042
	s_add_u32 m0, 0x300, s49                                   // 0000000041A4: 807C31FF 00000300
	v_mfma_f32_16x16x32_fp8_fp8 v[100:103], a[148:149], a[108:109], v[100:103]// 0000000041AC: D3F30064 1D92D994
	v_mfma_f32_16x16x32_fp8_fp8 v[100:103], a[150:151], a[110:111], v[100:103]// 0000000041B4: D3F30064 1D92DD96
	buffer_load_dword v67, s[20:23], 0 offen lds               // 0000000041BC: E0511000 80050043
	s_add_u32 m0, 0x400, s49                                   // 0000000041C4: 807C31FF 00000400
	v_mfma_f32_16x16x32_fp8_fp8 v[104:107], a[144:145], a[112:113], v[104:107]// 0000000041CC: D3F30068 1DA2E190
	v_mfma_f32_16x16x32_fp8_fp8 v[104:107], a[146:147], a[114:115], v[104:107]// 0000000041D4: D3F30068 1DA2E592
	buffer_load_dword v68, s[20:23], 0 offen lds               // 0000000041DC: E0511000 80050044
	s_add_u32 m0, 0x500, s49                                   // 0000000041E4: 807C31FF 00000500
	v_mfma_f32_16x16x32_fp8_fp8 v[104:107], a[148:149], a[116:117], v[104:107]// 0000000041EC: D3F30068 1DA2E994
	v_mfma_f32_16x16x32_fp8_fp8 v[104:107], a[150:151], a[118:119], v[104:107]// 0000000041F4: D3F30068 1DA2ED96
	buffer_load_dword v69, s[20:23], 0 offen lds               // 0000000041FC: E0511000 80050045
	s_add_u32 m0, 0x600, s49                                   // 000000004204: 807C31FF 00000600
	v_mfma_f32_16x16x32_fp8_fp8 v[108:111], a[144:145], a[120:121], v[108:111]// 00000000420C: D3F3006C 1DB2F190
	v_mfma_f32_16x16x32_fp8_fp8 v[108:111], a[146:147], a[122:123], v[108:111]// 000000004214: D3F3006C 1DB2F592
	buffer_load_dword v70, s[20:23], 0 offen lds               // 00000000421C: E0511000 80050046
	s_add_u32 m0, 0x700, s49                                   // 000000004224: 807C31FF 00000700
	v_mfma_f32_16x16x32_fp8_fp8 v[108:111], a[148:149], a[124:125], v[108:111]// 00000000422C: D3F3006C 1DB2F994
	v_mfma_f32_16x16x32_fp8_fp8 v[108:111], a[150:151], a[126:127], v[108:111]// 000000004234: D3F3006C 1DB2FD96
	buffer_load_dword v71, s[20:23], 0 offen lds               // 00000000423C: E0511000 80050047
	s_add_u32 m0, 0x800, s49                                   // 000000004244: 807C31FF 00000800
	v_mfma_f32_16x16x32_fp8_fp8 v[112:115], a[144:145], a[128:129], v[112:115]// 00000000424C: D3F30070 1DC30190
	v_mfma_f32_16x16x32_fp8_fp8 v[112:115], a[146:147], a[130:131], v[112:115]// 000000004254: D3F30070 1DC30592
	buffer_load_dword v72, s[20:23], 0 offen lds               // 00000000425C: E0511000 80050048
	s_add_u32 m0, 0x900, s49                                   // 000000004264: 807C31FF 00000900
	v_mfma_f32_16x16x32_fp8_fp8 v[112:115], a[148:149], a[132:133], v[112:115]// 00000000426C: D3F30070 1DC30994
	v_mfma_f32_16x16x32_fp8_fp8 v[112:115], a[150:151], a[134:135], v[112:115]// 000000004274: D3F30070 1DC30D96
	buffer_load_dword v73, s[20:23], 0 offen lds               // 00000000427C: E0511000 80050049
	s_add_u32 m0, 0xa00, s49                                   // 000000004284: 807C31FF 00000A00
	v_mfma_f32_16x16x32_fp8_fp8 v[116:119], a[144:145], a[136:137], v[116:119]// 00000000428C: D3F30074 1DD31190
	v_mfma_f32_16x16x32_fp8_fp8 v[116:119], a[146:147], a[138:139], v[116:119]// 000000004294: D3F30074 1DD31592
	buffer_load_dword v74, s[20:23], 0 offen lds               // 00000000429C: E0511000 8005004A
	s_add_u32 m0, 0xb00, s49                                   // 0000000042A4: 807C31FF 00000B00
	v_mfma_f32_16x16x32_fp8_fp8 v[116:119], a[148:149], a[140:141], v[116:119]// 0000000042AC: D3F30074 1DD31994
	v_mfma_f32_16x16x32_fp8_fp8 v[116:119], a[150:151], a[142:143], v[116:119]// 0000000042B4: D3F30074 1DD31D96
	buffer_load_dword v75, s[20:23], 0 offen lds               // 0000000042BC: E0511000 8005004B
	s_add_u32 m0, 0xc00, s49                                   // 0000000042C4: 807C31FF 00000C00
	s_waitcnt vmcnt(16)                                        // 0000000042CC: BF8C4F70
	v_mfma_f32_16x16x32_fp8_fp8 v[120:123], a[152:153], a[72:73], v[120:123]// 0000000042D0: D3F30078 1DE29198
	v_mfma_f32_16x16x32_fp8_fp8 v[120:123], a[154:155], a[74:75], v[120:123]// 0000000042D8: D3F30078 1DE2959A
	buffer_load_dword v76, s[20:23], 0 offen lds               // 0000000042E0: E0511000 8005004C
	s_add_u32 m0, 0xd00, s49                                   // 0000000042E8: 807C31FF 00000D00
	v_mfma_f32_16x16x32_fp8_fp8 v[120:123], a[156:157], a[76:77], v[120:123]// 0000000042F0: D3F30078 1DE2999C
	v_mfma_f32_16x16x32_fp8_fp8 v[120:123], a[158:159], a[78:79], v[120:123]// 0000000042F8: D3F30078 1DE29D9E
	buffer_load_dword v77, s[20:23], 0 offen lds               // 000000004300: E0511000 8005004D
	s_add_u32 m0, 0xe00, s49                                   // 000000004308: 807C31FF 00000E00
	v_mfma_f32_16x16x32_fp8_fp8 v[124:127], a[152:153], a[80:81], v[124:127]// 000000004310: D3F3007C 1DF2A198
	v_mfma_f32_16x16x32_fp8_fp8 v[124:127], a[154:155], a[82:83], v[124:127]// 000000004318: D3F3007C 1DF2A59A
	buffer_load_dword v78, s[20:23], 0 offen lds               // 000000004320: E0511000 8005004E
	s_add_u32 m0, 0xf00, s49                                   // 000000004328: 807C31FF 00000F00
	v_mfma_f32_16x16x32_fp8_fp8 v[124:127], a[156:157], a[84:85], v[124:127]// 000000004330: D3F3007C 1DF2A99C
	v_mfma_f32_16x16x32_fp8_fp8 v[124:127], a[158:159], a[86:87], v[124:127]// 000000004338: D3F3007C 1DF2AD9E
	buffer_load_dword v79, s[20:23], 0 offen lds               // 000000004340: E0511000 8005004F
	s_add_u32 m0, 0x1000, s49                                  // 000000004348: 807C31FF 00001000
	v_mfma_f32_16x16x32_fp8_fp8 v[128:131], a[152:153], a[88:89], v[128:131]// 000000004350: D3F30080 1E02B198
	v_mfma_f32_16x16x32_fp8_fp8 v[128:131], a[154:155], a[90:91], v[128:131]// 000000004358: D3F30080 1E02B59A
	buffer_load_dword v80, s[20:23], 0 offen lds               // 000000004360: E0511000 80050050
	s_add_u32 m0, 0x1100, s49                                  // 000000004368: 807C31FF 00001100
	v_mfma_f32_16x16x32_fp8_fp8 v[128:131], a[156:157], a[92:93], v[128:131]// 000000004370: D3F30080 1E02B99C
	v_mfma_f32_16x16x32_fp8_fp8 v[128:131], a[158:159], a[94:95], v[128:131]// 000000004378: D3F30080 1E02BD9E
	buffer_load_dword v81, s[20:23], 0 offen lds               // 000000004380: E0511000 80050051
	s_add_u32 m0, 0, s48                                       // 000000004388: 807C3080
	v_mfma_f32_16x16x32_fp8_fp8 v[132:135], a[152:153], a[96:97], v[132:135]// 00000000438C: D3F30084 1E12C198
	v_mfma_f32_16x16x32_fp8_fp8 v[132:135], a[154:155], a[98:99], v[132:135]// 000000004394: D3F30084 1E12C59A
	v_mfma_f32_16x16x32_fp8_fp8 v[132:135], a[156:157], a[100:101], v[132:135]// 00000000439C: D3F30084 1E12C99C
	v_mfma_f32_16x16x32_fp8_fp8 v[132:135], a[158:159], a[102:103], v[132:135]// 0000000043A4: D3F30084 1E12CD9E
	v_mfma_f32_16x16x32_fp8_fp8 v[136:139], a[152:153], a[104:105], v[136:139]// 0000000043AC: D3F30088 1E22D198
	v_mfma_f32_16x16x32_fp8_fp8 v[136:139], a[154:155], a[106:107], v[136:139]// 0000000043B4: D3F30088 1E22D59A
	v_mfma_f32_16x16x32_fp8_fp8 v[136:139], a[156:157], a[108:109], v[136:139]// 0000000043BC: D3F30088 1E22D99C
	v_mfma_f32_16x16x32_fp8_fp8 v[136:139], a[158:159], a[110:111], v[136:139]// 0000000043C4: D3F30088 1E22DD9E
	v_mfma_f32_16x16x32_fp8_fp8 v[140:143], a[152:153], a[112:113], v[140:143]// 0000000043CC: D3F3008C 1E32E198
	v_mfma_f32_16x16x32_fp8_fp8 v[140:143], a[154:155], a[114:115], v[140:143]// 0000000043D4: D3F3008C 1E32E59A
	v_mfma_f32_16x16x32_fp8_fp8 v[140:143], a[156:157], a[116:117], v[140:143]// 0000000043DC: D3F3008C 1E32E99C
	v_mfma_f32_16x16x32_fp8_fp8 v[140:143], a[158:159], a[118:119], v[140:143]// 0000000043E4: D3F3008C 1E32ED9E
	v_mfma_f32_16x16x32_fp8_fp8 v[144:147], a[152:153], a[120:121], v[144:147]// 0000000043EC: D3F30090 1E42F198
	v_mfma_f32_16x16x32_fp8_fp8 v[144:147], a[154:155], a[122:123], v[144:147]// 0000000043F4: D3F30090 1E42F59A
	v_mfma_f32_16x16x32_fp8_fp8 v[144:147], a[156:157], a[124:125], v[144:147]// 0000000043FC: D3F30090 1E42F99C
	v_mfma_f32_16x16x32_fp8_fp8 v[144:147], a[158:159], a[126:127], v[144:147]// 000000004404: D3F30090 1E42FD9E
	v_mfma_f32_16x16x32_fp8_fp8 v[148:151], a[152:153], a[128:129], v[148:151]// 00000000440C: D3F30094 1E530198
	v_mfma_f32_16x16x32_fp8_fp8 v[148:151], a[154:155], a[130:131], v[148:151]// 000000004414: D3F30094 1E53059A
	v_mfma_f32_16x16x32_fp8_fp8 v[148:151], a[156:157], a[132:133], v[148:151]// 00000000441C: D3F30094 1E53099C
	v_mfma_f32_16x16x32_fp8_fp8 v[148:151], a[158:159], a[134:135], v[148:151]// 000000004424: D3F30094 1E530D9E
	v_mfma_f32_16x16x32_fp8_fp8 v[152:155], a[152:153], a[136:137], v[152:155]// 00000000442C: D3F30098 1E631198
	v_mfma_f32_16x16x32_fp8_fp8 v[152:155], a[154:155], a[138:139], v[152:155]// 000000004434: D3F30098 1E63159A
	s_add_u32 s60, 0x80, s80                                   // 00000000443C: 803C50FF 00000080
	s_cmp_lt_u32 s60, s81                                      // 000000004444: BF0A513C
	s_cselect_b32 s83, s83, 0                                  // 000000004448: 85538053
	v_mfma_f32_16x16x32_fp8_fp8 v[152:155], a[156:157], a[140:141], v[152:155]// 00000000444C: D3F30098 1E63199C
	v_mfma_f32_16x16x32_fp8_fp8 v[152:155], a[158:159], a[142:143], v[152:155]// 000000004454: D3F30098 1E631D9E
	s_waitcnt vmcnt(18)                                        // 00000000445C: BF8C4F72
	v_mfma_f32_16x16x32_fp8_fp8 v[156:159], a[160:161], a[72:73], v[156:159]// 000000004460: D3F3009C 1E7291A0
	v_mfma_f32_16x16x32_fp8_fp8 v[156:159], a[162:163], a[74:75], v[156:159]// 000000004468: D3F3009C 1E7295A2
	buffer_load_dwordx4 a[144:147], v82, s[24:27], 0 offen     // 000000004470: E05C1000 80869052
	v_mfma_f32_16x16x32_fp8_fp8 v[156:159], a[164:165], a[76:77], v[156:159]// 000000004478: D3F3009C 1E7299A4
	v_mfma_f32_16x16x32_fp8_fp8 v[156:159], a[166:167], a[78:79], v[156:159]// 000000004480: D3F3009C 1E729DA6
	ds_read_b128 a[0:3], v2                                    // 000000004488: DBFE0000 00000002
	ds_read_b128 a[4:7], v2 offset:64                          // 000000004490: DBFE0040 04000002
	v_mfma_f32_16x16x32_fp8_fp8 v[192:195], a[168:169], a[72:73], v[192:195]// 000000004498: D3F300C0 1F0291A8
	v_mfma_f32_16x16x32_fp8_fp8 v[192:195], a[170:171], a[74:75], v[192:195]// 0000000044A0: D3F300C0 1F0295AA
	buffer_load_dwordx4 a[148:151], v82, s[24:27], 0 offen offset:1024// 0000000044A8: E05C1400 80869452
	v_mfma_f32_16x16x32_fp8_fp8 v[192:195], a[172:173], a[76:77], v[192:195]// 0000000044B0: D3F300C0 1F0299AC
	v_mfma_f32_16x16x32_fp8_fp8 v[192:195], a[174:175], a[78:79], v[192:195]// 0000000044B8: D3F300C0 1F029DAE
	ds_read_b128 a[8:11], v2 offset:512                        // 0000000044C0: DBFE0200 08000002
	ds_read_b128 a[12:15], v2 offset:576                       // 0000000044C8: DBFE0240 0C000002
	v_mfma_f32_16x16x32_fp8_fp8 v[160:163], a[160:161], a[80:81], v[160:163]// 0000000044D0: D3F300A0 1E82A1A0
	v_mfma_f32_16x16x32_fp8_fp8 v[160:163], a[162:163], a[82:83], v[160:163]// 0000000044D8: D3F300A0 1E82A5A2
	buffer_load_dwordx4 a[152:155], v83, s[24:27], 0 offen     // 0000000044E0: E05C1000 80869853
	v_mfma_f32_16x16x32_fp8_fp8 v[160:163], a[164:165], a[84:85], v[160:163]// 0000000044E8: D3F300A0 1E82A9A4
	v_mfma_f32_16x16x32_fp8_fp8 v[160:163], a[166:167], a[86:87], v[160:163]// 0000000044F0: D3F300A0 1E82ADA6
	ds_read_b128 a[16:19], v2 offset:1024                      // 0000000044F8: DBFE0400 10000002
	ds_read_b128 a[20:23], v2 offset:1088                      // 000000004500: DBFE0440 14000002
	v_mfma_f32_16x16x32_fp8_fp8 v[196:199], a[168:169], a[80:81], v[196:199]// 000000004508: D3F300C4 1F12A1A8
	v_mfma_f32_16x16x32_fp8_fp8 v[196:199], a[170:171], a[82:83], v[196:199]// 000000004510: D3F300C4 1F12A5AA
	buffer_load_dwordx4 a[156:159], v83, s[24:27], 0 offen offset:1024// 000000004518: E05C1400 80869C53
	v_mfma_f32_16x16x32_fp8_fp8 v[196:199], a[172:173], a[84:85], v[196:199]// 000000004520: D3F300C4 1F12A9AC
	v_mfma_f32_16x16x32_fp8_fp8 v[196:199], a[174:175], a[86:87], v[196:199]// 000000004528: D3F300C4 1F12ADAE
	ds_read_b128 a[24:27], v2 offset:1536                      // 000000004530: DBFE0600 18000002
	ds_read_b128 a[28:31], v2 offset:1600                      // 000000004538: DBFE0640 1C000002
	v_mfma_f32_16x16x32_fp8_fp8 v[164:167], a[160:161], a[88:89], v[164:167]// 000000004540: D3F300A4 1E92B1A0
	v_mfma_f32_16x16x32_fp8_fp8 v[164:167], a[162:163], a[90:91], v[164:167]// 000000004548: D3F300A4 1E92B5A2
	v_mfma_f32_16x16x32_fp8_fp8 v[164:167], a[164:165], a[92:93], v[164:167]// 000000004550: D3F300A4 1E92B9A4
	v_mfma_f32_16x16x32_fp8_fp8 v[164:167], a[166:167], a[94:95], v[164:167]// 000000004558: D3F300A4 1E92BDA6
	ds_read_b128 a[32:35], v2 offset:2048                      // 000000004560: DBFE0800 20000002
	ds_read_b128 a[36:39], v2 offset:2112                      // 000000004568: DBFE0840 24000002
	v_mfma_f32_16x16x32_fp8_fp8 v[200:203], a[168:169], a[88:89], v[200:203]// 000000004570: D3F300C8 1F22B1A8
	v_mfma_f32_16x16x32_fp8_fp8 v[200:203], a[170:171], a[90:91], v[200:203]// 000000004578: D3F300C8 1F22B5AA
	v_mfma_f32_16x16x32_fp8_fp8 v[200:203], a[172:173], a[92:93], v[200:203]// 000000004580: D3F300C8 1F22B9AC
	v_mfma_f32_16x16x32_fp8_fp8 v[200:203], a[174:175], a[94:95], v[200:203]// 000000004588: D3F300C8 1F22BDAE
	ds_read_b128 a[40:43], v2 offset:2560                      // 000000004590: DBFE0A00 28000002
	ds_read_b128 a[44:47], v2 offset:2624                      // 000000004598: DBFE0A40 2C000002
	v_mfma_f32_16x16x32_fp8_fp8 v[168:171], a[160:161], a[96:97], v[168:171]// 0000000045A0: D3F300A8 1EA2C1A0
	v_mfma_f32_16x16x32_fp8_fp8 v[168:171], a[162:163], a[98:99], v[168:171]// 0000000045A8: D3F300A8 1EA2C5A2
	v_mfma_f32_16x16x32_fp8_fp8 v[168:171], a[164:165], a[100:101], v[168:171]// 0000000045B0: D3F300A8 1EA2C9A4
	v_mfma_f32_16x16x32_fp8_fp8 v[168:171], a[166:167], a[102:103], v[168:171]// 0000000045B8: D3F300A8 1EA2CDA6
	ds_read_b128 a[48:51], v2 offset:3072                      // 0000000045C0: DBFE0C00 30000002
	ds_read_b128 a[52:55], v2 offset:3136                      // 0000000045C8: DBFE0C40 34000002
	v_mfma_f32_16x16x32_fp8_fp8 v[204:207], a[168:169], a[96:97], v[204:207]// 0000000045D0: D3F300CC 1F32C1A8
	v_mfma_f32_16x16x32_fp8_fp8 v[204:207], a[170:171], a[98:99], v[204:207]// 0000000045D8: D3F300CC 1F32C5AA
	v_mfma_f32_16x16x32_fp8_fp8 v[204:207], a[172:173], a[100:101], v[204:207]// 0000000045E0: D3F300CC 1F32C9AC
	v_mfma_f32_16x16x32_fp8_fp8 v[204:207], a[174:175], a[102:103], v[204:207]// 0000000045E8: D3F300CC 1F32CDAE
	ds_read_b128 a[56:59], v2 offset:3584                      // 0000000045F0: DBFE0E00 38000002
	ds_read_b128 a[60:63], v2 offset:3648                      // 0000000045F8: DBFE0E40 3C000002
	v_mfma_f32_16x16x32_fp8_fp8 v[172:175], a[160:161], a[104:105], v[172:175]// 000000004600: D3F300AC 1EB2D1A0
	v_mfma_f32_16x16x32_fp8_fp8 v[172:175], a[162:163], a[106:107], v[172:175]// 000000004608: D3F300AC 1EB2D5A2
	v_mfma_f32_16x16x32_fp8_fp8 v[172:175], a[164:165], a[108:109], v[172:175]// 000000004610: D3F300AC 1EB2D9A4
	v_mfma_f32_16x16x32_fp8_fp8 v[172:175], a[166:167], a[110:111], v[172:175]// 000000004618: D3F300AC 1EB2DDA6
	ds_read_b128 a[64:67], v2 offset:4096                      // 000000004620: DBFE1000 40000002
	ds_read_b128 a[68:71], v2 offset:4160                      // 000000004628: DBFE1040 44000002
	v_mfma_f32_16x16x32_fp8_fp8 v[208:211], a[168:169], a[104:105], v[208:211]// 000000004630: D3F300D0 1F42D1A8
	v_mfma_f32_16x16x32_fp8_fp8 v[208:211], a[170:171], a[106:107], v[208:211]// 000000004638: D3F300D0 1F42D5AA
	v_mfma_f32_16x16x32_fp8_fp8 v[208:211], a[172:173], a[108:109], v[208:211]// 000000004640: D3F300D0 1F42D9AC
	v_mfma_f32_16x16x32_fp8_fp8 v[208:211], a[174:175], a[110:111], v[208:211]// 000000004648: D3F300D0 1F42DDAE
	v_mfma_f32_16x16x32_fp8_fp8 v[176:179], a[160:161], a[112:113], v[176:179]// 000000004650: D3F300B0 1EC2E1A0
	v_mfma_f32_16x16x32_fp8_fp8 v[176:179], a[162:163], a[114:115], v[176:179]// 000000004658: D3F300B0 1EC2E5A2
	v_mfma_f32_16x16x32_fp8_fp8 v[176:179], a[164:165], a[116:117], v[176:179]// 000000004660: D3F300B0 1EC2E9A4
	v_mfma_f32_16x16x32_fp8_fp8 v[176:179], a[166:167], a[118:119], v[176:179]// 000000004668: D3F300B0 1EC2EDA6
	v_mfma_f32_16x16x32_fp8_fp8 v[212:215], a[168:169], a[112:113], v[212:215]// 000000004670: D3F300D4 1F52E1A8
	v_mfma_f32_16x16x32_fp8_fp8 v[212:215], a[170:171], a[114:115], v[212:215]// 000000004678: D3F300D4 1F52E5AA
	v_mfma_f32_16x16x32_fp8_fp8 v[212:215], a[172:173], a[116:117], v[212:215]// 000000004680: D3F300D4 1F52E9AC
	v_mfma_f32_16x16x32_fp8_fp8 v[212:215], a[174:175], a[118:119], v[212:215]// 000000004688: D3F300D4 1F52EDAE
	v_mfma_f32_16x16x32_fp8_fp8 v[180:183], a[160:161], a[120:121], v[180:183]// 000000004690: D3F300B4 1ED2F1A0
	v_mfma_f32_16x16x32_fp8_fp8 v[180:183], a[162:163], a[122:123], v[180:183]// 000000004698: D3F300B4 1ED2F5A2
	v_mfma_f32_16x16x32_fp8_fp8 v[180:183], a[164:165], a[124:125], v[180:183]// 0000000046A0: D3F300B4 1ED2F9A4
	v_mfma_f32_16x16x32_fp8_fp8 v[180:183], a[166:167], a[126:127], v[180:183]// 0000000046A8: D3F300B4 1ED2FDA6
	v_mfma_f32_16x16x32_fp8_fp8 v[216:219], a[168:169], a[120:121], v[216:219]// 0000000046B0: D3F300D8 1F62F1A8
	v_mfma_f32_16x16x32_fp8_fp8 v[216:219], a[170:171], a[122:123], v[216:219]// 0000000046B8: D3F300D8 1F62F5AA
	v_mfma_f32_16x16x32_fp8_fp8 v[216:219], a[172:173], a[124:125], v[216:219]// 0000000046C0: D3F300D8 1F62F9AC
	v_mfma_f32_16x16x32_fp8_fp8 v[216:219], a[174:175], a[126:127], v[216:219]// 0000000046C8: D3F300D8 1F62FDAE
	v_mfma_f32_16x16x32_fp8_fp8 v[184:187], a[160:161], a[128:129], v[184:187]// 0000000046D0: D3F300B8 1EE301A0
	v_mfma_f32_16x16x32_fp8_fp8 v[184:187], a[162:163], a[130:131], v[184:187]// 0000000046D8: D3F300B8 1EE305A2
	v_mfma_f32_16x16x32_fp8_fp8 v[184:187], a[164:165], a[132:133], v[184:187]// 0000000046E0: D3F300B8 1EE309A4
	v_mfma_f32_16x16x32_fp8_fp8 v[184:187], a[166:167], a[134:135], v[184:187]// 0000000046E8: D3F300B8 1EE30DA6
	v_mfma_f32_16x16x32_fp8_fp8 v[220:223], a[168:169], a[128:129], v[220:223]// 0000000046F0: D3F300DC 1F7301A8
	v_mfma_f32_16x16x32_fp8_fp8 v[220:223], a[170:171], a[130:131], v[220:223]// 0000000046F8: D3F300DC 1F7305AA
	v_mfma_f32_16x16x32_fp8_fp8 v[220:223], a[172:173], a[132:133], v[220:223]// 000000004700: D3F300DC 1F7309AC
	v_mfma_f32_16x16x32_fp8_fp8 v[220:223], a[174:175], a[134:135], v[220:223]// 000000004708: D3F300DC 1F730DAE
	v_mfma_f32_16x16x32_fp8_fp8 v[188:191], a[160:161], a[136:137], v[188:191]// 000000004710: D3F300BC 1EF311A0
	v_mfma_f32_16x16x32_fp8_fp8 v[188:191], a[162:163], a[138:139], v[188:191]// 000000004718: D3F300BC 1EF315A2
	v_mfma_f32_16x16x32_fp8_fp8 v[188:191], a[164:165], a[140:141], v[188:191]// 000000004720: D3F300BC 1EF319A4
	s_add_u32 s60, 0x180, s80                                  // 000000004728: 803C50FF 00000180
	s_cmp_lt_u32 s60, s81                                      // 000000004730: BF0A513C
	s_cselect_b32 s57, s57, 0                                  // 000000004734: 85398039
	v_mfma_f32_16x16x32_fp8_fp8 v[188:191], a[166:167], a[142:143], v[188:191]// 000000004738: D3F300BC 1EF31DA6
	s_add_u32 s60, 0x100, s80                                  // 000000004740: 803C50FF 00000100
	s_cmp_lt_u32 s60, s81                                      // 000000004748: BF0A513C
	s_cselect_b32 s58, s58, 0                                  // 00000000474C: 853A803A
	v_mfma_f32_16x16x32_fp8_fp8 v[224:227], a[168:169], a[136:137], v[224:227]// 000000004750: D3F300E0 1F8311A8
	s_add_u32 s24, s58, s24                                    // 000000004758: 8018183A
	s_addc_u32 s25, 0, s25                                     // 00000000475C: 82191980
	v_mfma_f32_16x16x32_fp8_fp8 v[224:227], a[170:171], a[138:139], v[224:227]// 000000004760: D3F300E0 1F8315AA
	s_add_u32 s20, s57, s20                                    // 000000004768: 80141439
	s_addc_u32 s21, 0, s21                                     // 00000000476C: 82151580
	v_mfma_f32_16x16x32_fp8_fp8 v[224:227], a[172:173], a[140:141], v[224:227]// 000000004770: D3F300E0 1F8319AC
	s_add_u32 s84, s83, s84                                    // 000000004778: 80545453
	s_addc_u32 s85, 0, s85                                     // 00000000477C: 82555580
	v_mfma_f32_16x16x32_fp8_fp8 v[224:227], a[174:175], a[142:143], v[224:227]// 000000004780: D3F300E0 1F831DAE
	s_addk_i32 s80, 0x80                                       // 000000004788: B7500080
	s_cmp_lt_i32 s80, s81                                      // 00000000478C: BF045150
	s_cbranch_scc0 label_0766                                  // 000000004790: BF840001
	s_branch label_03FD                                        // 000000004794: BF82FC97

0000000000004798 <label_0766>:
	v_mul_f32_dpp v84, v24, v84 row_newbcast:0 row_mask:0xf bank_mask:0xf// 000000004798: 0AA8A8FA FF015018
	v_mul_f32_dpp v85, v24, v85 row_newbcast:1 row_mask:0xf bank_mask:0xf// 0000000047A0: 0AAAAAFA FF015118
	v_mul_f32_dpp v86, v24, v86 row_newbcast:2 row_mask:0xf bank_mask:0xf// 0000000047A8: 0AACACFA FF015218
	v_mul_f32_dpp v87, v24, v87 row_newbcast:3 row_mask:0xf bank_mask:0xf// 0000000047B0: 0AAEAEFA FF015318
	v_mul_f32_dpp v88, v24, v88 row_newbcast:0 row_mask:0xf bank_mask:0xf// 0000000047B8: 0AB0B0FA FF015018
	v_mul_f32_dpp v89, v24, v89 row_newbcast:1 row_mask:0xf bank_mask:0xf// 0000000047C0: 0AB2B2FA FF015118
	v_mul_f32_dpp v90, v24, v90 row_newbcast:2 row_mask:0xf bank_mask:0xf// 0000000047C8: 0AB4B4FA FF015218
	v_mul_f32_dpp v91, v24, v91 row_newbcast:3 row_mask:0xf bank_mask:0xf// 0000000047D0: 0AB6B6FA FF015318
	v_mul_f32_dpp v92, v24, v92 row_newbcast:0 row_mask:0xf bank_mask:0xf// 0000000047D8: 0AB8B8FA FF015018
	v_mul_f32_dpp v93, v24, v93 row_newbcast:1 row_mask:0xf bank_mask:0xf// 0000000047E0: 0ABABAFA FF015118
	v_mul_f32_dpp v94, v24, v94 row_newbcast:2 row_mask:0xf bank_mask:0xf// 0000000047E8: 0ABCBCFA FF015218
	v_mul_f32_dpp v95, v24, v95 row_newbcast:3 row_mask:0xf bank_mask:0xf// 0000000047F0: 0ABEBEFA FF015318
	v_mul_f32_dpp v96, v24, v96 row_newbcast:0 row_mask:0xf bank_mask:0xf// 0000000047F8: 0AC0C0FA FF015018
	v_mul_f32_dpp v97, v24, v97 row_newbcast:1 row_mask:0xf bank_mask:0xf// 000000004800: 0AC2C2FA FF015118
	v_mul_f32_dpp v98, v24, v98 row_newbcast:2 row_mask:0xf bank_mask:0xf// 000000004808: 0AC4C4FA FF015218
	v_mul_f32_dpp v99, v24, v99 row_newbcast:3 row_mask:0xf bank_mask:0xf// 000000004810: 0AC6C6FA FF015318
	v_mul_f32_dpp v100, v24, v100 row_newbcast:0 row_mask:0xf bank_mask:0xf// 000000004818: 0AC8C8FA FF015018
	v_mul_f32_dpp v101, v24, v101 row_newbcast:1 row_mask:0xf bank_mask:0xf// 000000004820: 0ACACAFA FF015118
	v_mul_f32_dpp v102, v24, v102 row_newbcast:2 row_mask:0xf bank_mask:0xf// 000000004828: 0ACCCCFA FF015218
	v_mul_f32_dpp v103, v24, v103 row_newbcast:3 row_mask:0xf bank_mask:0xf// 000000004830: 0ACECEFA FF015318
	v_mul_f32_dpp v104, v24, v104 row_newbcast:0 row_mask:0xf bank_mask:0xf// 000000004838: 0AD0D0FA FF015018
	v_mul_f32_dpp v105, v24, v105 row_newbcast:1 row_mask:0xf bank_mask:0xf// 000000004840: 0AD2D2FA FF015118
	v_mul_f32_dpp v106, v24, v106 row_newbcast:2 row_mask:0xf bank_mask:0xf// 000000004848: 0AD4D4FA FF015218
	v_mul_f32_dpp v107, v24, v107 row_newbcast:3 row_mask:0xf bank_mask:0xf// 000000004850: 0AD6D6FA FF015318
	v_mul_f32_dpp v108, v24, v108 row_newbcast:0 row_mask:0xf bank_mask:0xf// 000000004858: 0AD8D8FA FF015018
	v_mul_f32_dpp v109, v24, v109 row_newbcast:1 row_mask:0xf bank_mask:0xf// 000000004860: 0ADADAFA FF015118
	v_mul_f32_dpp v110, v24, v110 row_newbcast:2 row_mask:0xf bank_mask:0xf// 000000004868: 0ADCDCFA FF015218
	v_mul_f32_dpp v111, v24, v111 row_newbcast:3 row_mask:0xf bank_mask:0xf// 000000004870: 0ADEDEFA FF015318
	v_mul_f32_dpp v112, v24, v112 row_newbcast:0 row_mask:0xf bank_mask:0xf// 000000004878: 0AE0E0FA FF015018
	v_mul_f32_dpp v113, v24, v113 row_newbcast:1 row_mask:0xf bank_mask:0xf// 000000004880: 0AE2E2FA FF015118
	v_mul_f32_dpp v114, v24, v114 row_newbcast:2 row_mask:0xf bank_mask:0xf// 000000004888: 0AE4E4FA FF015218
	v_mul_f32_dpp v115, v24, v115 row_newbcast:3 row_mask:0xf bank_mask:0xf// 000000004890: 0AE6E6FA FF015318
	v_mul_f32_dpp v116, v24, v116 row_newbcast:0 row_mask:0xf bank_mask:0xf// 000000004898: 0AE8E8FA FF015018
	v_mul_f32_dpp v117, v24, v117 row_newbcast:1 row_mask:0xf bank_mask:0xf// 0000000048A0: 0AEAEAFA FF015118
	v_mul_f32_dpp v118, v24, v118 row_newbcast:2 row_mask:0xf bank_mask:0xf// 0000000048A8: 0AECECFA FF015218
	v_mul_f32_dpp v119, v24, v119 row_newbcast:3 row_mask:0xf bank_mask:0xf// 0000000048B0: 0AEEEEFA FF015318
	v_mul_f32_dpp v120, v24, v120 row_newbcast:4 row_mask:0xf bank_mask:0xf// 0000000048B8: 0AF0F0FA FF015418
	v_mul_f32_dpp v121, v24, v121 row_newbcast:5 row_mask:0xf bank_mask:0xf// 0000000048C0: 0AF2F2FA FF015518
	v_mul_f32_dpp v122, v24, v122 row_newbcast:6 row_mask:0xf bank_mask:0xf// 0000000048C8: 0AF4F4FA FF015618
	v_mul_f32_dpp v123, v24, v123 row_newbcast:7 row_mask:0xf bank_mask:0xf// 0000000048D0: 0AF6F6FA FF015718
	v_mul_f32_dpp v124, v24, v124 row_newbcast:4 row_mask:0xf bank_mask:0xf// 0000000048D8: 0AF8F8FA FF015418
	v_mul_f32_dpp v125, v24, v125 row_newbcast:5 row_mask:0xf bank_mask:0xf// 0000000048E0: 0AFAFAFA FF015518
	v_mul_f32_dpp v126, v24, v126 row_newbcast:6 row_mask:0xf bank_mask:0xf// 0000000048E8: 0AFCFCFA FF015618
	v_mul_f32_dpp v127, v24, v127 row_newbcast:7 row_mask:0xf bank_mask:0xf// 0000000048F0: 0AFEFEFA FF015718
	v_mul_f32_dpp v128, v24, v128 row_newbcast:4 row_mask:0xf bank_mask:0xf// 0000000048F8: 0B0100FA FF015418
	v_mul_f32_dpp v129, v24, v129 row_newbcast:5 row_mask:0xf bank_mask:0xf// 000000004900: 0B0302FA FF015518
	v_mul_f32_dpp v130, v24, v130 row_newbcast:6 row_mask:0xf bank_mask:0xf// 000000004908: 0B0504FA FF015618
	v_mul_f32_dpp v131, v24, v131 row_newbcast:7 row_mask:0xf bank_mask:0xf// 000000004910: 0B0706FA FF015718
	v_mul_f32_dpp v132, v24, v132 row_newbcast:4 row_mask:0xf bank_mask:0xf// 000000004918: 0B0908FA FF015418
	v_mul_f32_dpp v133, v24, v133 row_newbcast:5 row_mask:0xf bank_mask:0xf// 000000004920: 0B0B0AFA FF015518
	v_mul_f32_dpp v134, v24, v134 row_newbcast:6 row_mask:0xf bank_mask:0xf// 000000004928: 0B0D0CFA FF015618
	v_mul_f32_dpp v135, v24, v135 row_newbcast:7 row_mask:0xf bank_mask:0xf// 000000004930: 0B0F0EFA FF015718
	v_mul_f32_dpp v136, v24, v136 row_newbcast:4 row_mask:0xf bank_mask:0xf// 000000004938: 0B1110FA FF015418
	v_mul_f32_dpp v137, v24, v137 row_newbcast:5 row_mask:0xf bank_mask:0xf// 000000004940: 0B1312FA FF015518
	v_mul_f32_dpp v138, v24, v138 row_newbcast:6 row_mask:0xf bank_mask:0xf// 000000004948: 0B1514FA FF015618
	v_mul_f32_dpp v139, v24, v139 row_newbcast:7 row_mask:0xf bank_mask:0xf// 000000004950: 0B1716FA FF015718
	v_mul_f32_dpp v140, v24, v140 row_newbcast:4 row_mask:0xf bank_mask:0xf// 000000004958: 0B1918FA FF015418
	v_mul_f32_dpp v141, v24, v141 row_newbcast:5 row_mask:0xf bank_mask:0xf// 000000004960: 0B1B1AFA FF015518
	v_mul_f32_dpp v142, v24, v142 row_newbcast:6 row_mask:0xf bank_mask:0xf// 000000004968: 0B1D1CFA FF015618
	v_mul_f32_dpp v143, v24, v143 row_newbcast:7 row_mask:0xf bank_mask:0xf// 000000004970: 0B1F1EFA FF015718
	v_mul_f32_dpp v144, v24, v144 row_newbcast:4 row_mask:0xf bank_mask:0xf// 000000004978: 0B2120FA FF015418
	v_mul_f32_dpp v145, v24, v145 row_newbcast:5 row_mask:0xf bank_mask:0xf// 000000004980: 0B2322FA FF015518
	v_mul_f32_dpp v146, v24, v146 row_newbcast:6 row_mask:0xf bank_mask:0xf// 000000004988: 0B2524FA FF015618
	v_mul_f32_dpp v147, v24, v147 row_newbcast:7 row_mask:0xf bank_mask:0xf// 000000004990: 0B2726FA FF015718
	v_mul_f32_dpp v148, v24, v148 row_newbcast:4 row_mask:0xf bank_mask:0xf// 000000004998: 0B2928FA FF015418
	v_mul_f32_dpp v149, v24, v149 row_newbcast:5 row_mask:0xf bank_mask:0xf// 0000000049A0: 0B2B2AFA FF015518
	v_mul_f32_dpp v150, v24, v150 row_newbcast:6 row_mask:0xf bank_mask:0xf// 0000000049A8: 0B2D2CFA FF015618
	v_mul_f32_dpp v151, v24, v151 row_newbcast:7 row_mask:0xf bank_mask:0xf// 0000000049B0: 0B2F2EFA FF015718
	v_mul_f32_dpp v152, v24, v152 row_newbcast:4 row_mask:0xf bank_mask:0xf// 0000000049B8: 0B3130FA FF015418
	v_mul_f32_dpp v153, v24, v153 row_newbcast:5 row_mask:0xf bank_mask:0xf// 0000000049C0: 0B3332FA FF015518
	v_mul_f32_dpp v154, v24, v154 row_newbcast:6 row_mask:0xf bank_mask:0xf// 0000000049C8: 0B3534FA FF015618
	v_mul_f32_dpp v155, v24, v155 row_newbcast:7 row_mask:0xf bank_mask:0xf// 0000000049D0: 0B3736FA FF015718
	v_mul_f32_dpp v156, v26, v156 row_newbcast:0 row_mask:0xf bank_mask:0xf// 0000000049D8: 0B3938FA FF01501A
	v_mul_f32_dpp v157, v26, v157 row_newbcast:1 row_mask:0xf bank_mask:0xf// 0000000049E0: 0B3B3AFA FF01511A
	v_mul_f32_dpp v158, v26, v158 row_newbcast:2 row_mask:0xf bank_mask:0xf// 0000000049E8: 0B3D3CFA FF01521A
	v_mul_f32_dpp v159, v26, v159 row_newbcast:3 row_mask:0xf bank_mask:0xf// 0000000049F0: 0B3F3EFA FF01531A
	v_mul_f32_dpp v160, v26, v160 row_newbcast:0 row_mask:0xf bank_mask:0xf// 0000000049F8: 0B4140FA FF01501A
	v_mul_f32_dpp v161, v26, v161 row_newbcast:1 row_mask:0xf bank_mask:0xf// 000000004A00: 0B4342FA FF01511A
	v_mul_f32_dpp v162, v26, v162 row_newbcast:2 row_mask:0xf bank_mask:0xf// 000000004A08: 0B4544FA FF01521A
	v_mul_f32_dpp v163, v26, v163 row_newbcast:3 row_mask:0xf bank_mask:0xf// 000000004A10: 0B4746FA FF01531A
	v_mul_f32_dpp v164, v26, v164 row_newbcast:0 row_mask:0xf bank_mask:0xf// 000000004A18: 0B4948FA FF01501A
	v_mul_f32_dpp v165, v26, v165 row_newbcast:1 row_mask:0xf bank_mask:0xf// 000000004A20: 0B4B4AFA FF01511A
	v_mul_f32_dpp v166, v26, v166 row_newbcast:2 row_mask:0xf bank_mask:0xf// 000000004A28: 0B4D4CFA FF01521A
	v_mul_f32_dpp v167, v26, v167 row_newbcast:3 row_mask:0xf bank_mask:0xf// 000000004A30: 0B4F4EFA FF01531A
	v_mul_f32_dpp v168, v26, v168 row_newbcast:0 row_mask:0xf bank_mask:0xf// 000000004A38: 0B5150FA FF01501A
	v_mul_f32_dpp v169, v26, v169 row_newbcast:1 row_mask:0xf bank_mask:0xf// 000000004A40: 0B5352FA FF01511A
	v_mul_f32_dpp v170, v26, v170 row_newbcast:2 row_mask:0xf bank_mask:0xf// 000000004A48: 0B5554FA FF01521A
	v_mul_f32_dpp v171, v26, v171 row_newbcast:3 row_mask:0xf bank_mask:0xf// 000000004A50: 0B5756FA FF01531A
	v_mul_f32_dpp v172, v26, v172 row_newbcast:0 row_mask:0xf bank_mask:0xf// 000000004A58: 0B5958FA FF01501A
	v_mul_f32_dpp v173, v26, v173 row_newbcast:1 row_mask:0xf bank_mask:0xf// 000000004A60: 0B5B5AFA FF01511A
	v_mul_f32_dpp v174, v26, v174 row_newbcast:2 row_mask:0xf bank_mask:0xf// 000000004A68: 0B5D5CFA FF01521A
	v_mul_f32_dpp v175, v26, v175 row_newbcast:3 row_mask:0xf bank_mask:0xf// 000000004A70: 0B5F5EFA FF01531A
	v_mul_f32_dpp v176, v26, v176 row_newbcast:0 row_mask:0xf bank_mask:0xf// 000000004A78: 0B6160FA FF01501A
	v_mul_f32_dpp v177, v26, v177 row_newbcast:1 row_mask:0xf bank_mask:0xf// 000000004A80: 0B6362FA FF01511A
	v_mul_f32_dpp v178, v26, v178 row_newbcast:2 row_mask:0xf bank_mask:0xf// 000000004A88: 0B6564FA FF01521A
	v_mul_f32_dpp v179, v26, v179 row_newbcast:3 row_mask:0xf bank_mask:0xf// 000000004A90: 0B6766FA FF01531A
	v_mul_f32_dpp v180, v26, v180 row_newbcast:0 row_mask:0xf bank_mask:0xf// 000000004A98: 0B6968FA FF01501A
	v_mul_f32_dpp v181, v26, v181 row_newbcast:1 row_mask:0xf bank_mask:0xf// 000000004AA0: 0B6B6AFA FF01511A
	v_mul_f32_dpp v182, v26, v182 row_newbcast:2 row_mask:0xf bank_mask:0xf// 000000004AA8: 0B6D6CFA FF01521A
	v_mul_f32_dpp v183, v26, v183 row_newbcast:3 row_mask:0xf bank_mask:0xf// 000000004AB0: 0B6F6EFA FF01531A
	v_mul_f32_dpp v184, v26, v184 row_newbcast:0 row_mask:0xf bank_mask:0xf// 000000004AB8: 0B7170FA FF01501A
	v_mul_f32_dpp v185, v26, v185 row_newbcast:1 row_mask:0xf bank_mask:0xf// 000000004AC0: 0B7372FA FF01511A
	v_mul_f32_dpp v186, v26, v186 row_newbcast:2 row_mask:0xf bank_mask:0xf// 000000004AC8: 0B7574FA FF01521A
	v_mul_f32_dpp v187, v26, v187 row_newbcast:3 row_mask:0xf bank_mask:0xf// 000000004AD0: 0B7776FA FF01531A
	v_mul_f32_dpp v188, v26, v188 row_newbcast:0 row_mask:0xf bank_mask:0xf// 000000004AD8: 0B7978FA FF01501A
	v_mul_f32_dpp v189, v26, v189 row_newbcast:1 row_mask:0xf bank_mask:0xf// 000000004AE0: 0B7B7AFA FF01511A
	v_mul_f32_dpp v190, v26, v190 row_newbcast:2 row_mask:0xf bank_mask:0xf// 000000004AE8: 0B7D7CFA FF01521A
	v_mul_f32_dpp v191, v26, v191 row_newbcast:3 row_mask:0xf bank_mask:0xf// 000000004AF0: 0B7F7EFA FF01531A
	v_mul_f32_dpp v192, v26, v192 row_newbcast:4 row_mask:0xf bank_mask:0xf// 000000004AF8: 0B8180FA FF01541A
	v_mul_f32_dpp v193, v26, v193 row_newbcast:5 row_mask:0xf bank_mask:0xf// 000000004B00: 0B8382FA FF01551A
	v_mul_f32_dpp v194, v26, v194 row_newbcast:6 row_mask:0xf bank_mask:0xf// 000000004B08: 0B8584FA FF01561A
	v_mul_f32_dpp v195, v26, v195 row_newbcast:7 row_mask:0xf bank_mask:0xf// 000000004B10: 0B8786FA FF01571A
	v_mul_f32_dpp v196, v26, v196 row_newbcast:4 row_mask:0xf bank_mask:0xf// 000000004B18: 0B8988FA FF01541A
	v_mul_f32_dpp v197, v26, v197 row_newbcast:5 row_mask:0xf bank_mask:0xf// 000000004B20: 0B8B8AFA FF01551A
	v_mul_f32_dpp v198, v26, v198 row_newbcast:6 row_mask:0xf bank_mask:0xf// 000000004B28: 0B8D8CFA FF01561A
	v_mul_f32_dpp v199, v26, v199 row_newbcast:7 row_mask:0xf bank_mask:0xf// 000000004B30: 0B8F8EFA FF01571A
	v_mul_f32_dpp v200, v26, v200 row_newbcast:4 row_mask:0xf bank_mask:0xf// 000000004B38: 0B9190FA FF01541A
	v_mul_f32_dpp v201, v26, v201 row_newbcast:5 row_mask:0xf bank_mask:0xf// 000000004B40: 0B9392FA FF01551A
	v_mul_f32_dpp v202, v26, v202 row_newbcast:6 row_mask:0xf bank_mask:0xf// 000000004B48: 0B9594FA FF01561A
	v_mul_f32_dpp v203, v26, v203 row_newbcast:7 row_mask:0xf bank_mask:0xf// 000000004B50: 0B9796FA FF01571A
	v_mul_f32_dpp v204, v26, v204 row_newbcast:4 row_mask:0xf bank_mask:0xf// 000000004B58: 0B9998FA FF01541A
	v_mul_f32_dpp v205, v26, v205 row_newbcast:5 row_mask:0xf bank_mask:0xf// 000000004B60: 0B9B9AFA FF01551A
	v_mul_f32_dpp v206, v26, v206 row_newbcast:6 row_mask:0xf bank_mask:0xf// 000000004B68: 0B9D9CFA FF01561A
	v_mul_f32_dpp v207, v26, v207 row_newbcast:7 row_mask:0xf bank_mask:0xf// 000000004B70: 0B9F9EFA FF01571A
	v_mul_f32_dpp v208, v26, v208 row_newbcast:4 row_mask:0xf bank_mask:0xf// 000000004B78: 0BA1A0FA FF01541A
	v_mul_f32_dpp v209, v26, v209 row_newbcast:5 row_mask:0xf bank_mask:0xf// 000000004B80: 0BA3A2FA FF01551A
	v_mul_f32_dpp v210, v26, v210 row_newbcast:6 row_mask:0xf bank_mask:0xf// 000000004B88: 0BA5A4FA FF01561A
	v_mul_f32_dpp v211, v26, v211 row_newbcast:7 row_mask:0xf bank_mask:0xf// 000000004B90: 0BA7A6FA FF01571A
	v_mul_f32_dpp v212, v26, v212 row_newbcast:4 row_mask:0xf bank_mask:0xf// 000000004B98: 0BA9A8FA FF01541A
	v_mul_f32_dpp v213, v26, v213 row_newbcast:5 row_mask:0xf bank_mask:0xf// 000000004BA0: 0BABAAFA FF01551A
	v_mul_f32_dpp v214, v26, v214 row_newbcast:6 row_mask:0xf bank_mask:0xf// 000000004BA8: 0BADACFA FF01561A
	v_mul_f32_dpp v215, v26, v215 row_newbcast:7 row_mask:0xf bank_mask:0xf// 000000004BB0: 0BAFAEFA FF01571A
	v_mul_f32_dpp v216, v26, v216 row_newbcast:4 row_mask:0xf bank_mask:0xf// 000000004BB8: 0BB1B0FA FF01541A
	v_mul_f32_dpp v217, v26, v217 row_newbcast:5 row_mask:0xf bank_mask:0xf// 000000004BC0: 0BB3B2FA FF01551A
	v_mul_f32_dpp v218, v26, v218 row_newbcast:6 row_mask:0xf bank_mask:0xf// 000000004BC8: 0BB5B4FA FF01561A
	v_mul_f32_dpp v219, v26, v219 row_newbcast:7 row_mask:0xf bank_mask:0xf// 000000004BD0: 0BB7B6FA FF01571A
	v_mul_f32_dpp v220, v26, v220 row_newbcast:4 row_mask:0xf bank_mask:0xf// 000000004BD8: 0BB9B8FA FF01541A
	v_mul_f32_dpp v221, v26, v221 row_newbcast:5 row_mask:0xf bank_mask:0xf// 000000004BE0: 0BBBBAFA FF01551A
	v_mul_f32_dpp v222, v26, v222 row_newbcast:6 row_mask:0xf bank_mask:0xf// 000000004BE8: 0BBDBCFA FF01561A
	v_mul_f32_dpp v223, v26, v223 row_newbcast:7 row_mask:0xf bank_mask:0xf// 000000004BF0: 0BBFBEFA FF01571A
	v_mul_f32_dpp v224, v26, v224 row_newbcast:4 row_mask:0xf bank_mask:0xf// 000000004BF8: 0BC1C0FA FF01541A
	v_mul_f32_dpp v225, v26, v225 row_newbcast:5 row_mask:0xf bank_mask:0xf// 000000004C00: 0BC3C2FA FF01551A
	v_mul_f32_dpp v226, v26, v226 row_newbcast:6 row_mask:0xf bank_mask:0xf// 000000004C08: 0BC5C4FA FF01561A
	v_mul_f32_dpp v227, v26, v227 row_newbcast:7 row_mask:0xf bank_mask:0xf// 000000004C10: 0BC7C6FA FF01571A
	v_mul_f32_e32 v37, v37, v228                               // 000000004C18: 0A4BC925
	v_mov_b32_e32 v4, v37                                      // 000000004C1C: 7E080325
	v_mov_b32_e32 v5, v4                                       // 000000004C20: 7E0A0304
	v_pk_mul_f32 v[84:85], v[4:5], v[84:85]                    // 000000004C24: D3B14054 1802A904
	v_pk_mul_f32 v[156:157], v[4:5], v[156:157]                // 000000004C2C: D3B1409C 18033904
	v_pk_mul_f32 v[86:87], v[4:5], v[86:87]                    // 000000004C34: D3B14056 1802AD04
	v_pk_mul_f32 v[158:159], v[4:5], v[158:159]                // 000000004C3C: D3B1409E 18033D04
	v_pk_mul_f32 v[120:121], v[4:5], v[120:121]                // 000000004C44: D3B14078 1802F104
	v_pk_mul_f32 v[192:193], v[4:5], v[192:193]                // 000000004C4C: D3B140C0 18038104
	v_pk_mul_f32 v[122:123], v[4:5], v[122:123]                // 000000004C54: D3B1407A 1802F504
	v_pk_mul_f32 v[194:195], v[4:5], v[194:195]                // 000000004C5C: D3B140C2 18038504
	v_mul_f32_e32 v38, v38, v229                               // 000000004C64: 0A4DCB26
	v_mov_b32_e32 v4, v38                                      // 000000004C68: 7E080326
	v_mov_b32_e32 v5, v4                                       // 000000004C6C: 7E0A0304
	v_pk_mul_f32 v[88:89], v[4:5], v[88:89]                    // 000000004C70: D3B14058 1802B104
	v_pk_mul_f32 v[160:161], v[4:5], v[160:161]                // 000000004C78: D3B140A0 18034104
	v_pk_mul_f32 v[90:91], v[4:5], v[90:91]                    // 000000004C80: D3B1405A 1802B504
	v_pk_mul_f32 v[162:163], v[4:5], v[162:163]                // 000000004C88: D3B140A2 18034504
	v_pk_mul_f32 v[124:125], v[4:5], v[124:125]                // 000000004C90: D3B1407C 1802F904
	v_pk_mul_f32 v[196:197], v[4:5], v[196:197]                // 000000004C98: D3B140C4 18038904
	v_pk_mul_f32 v[126:127], v[4:5], v[126:127]                // 000000004CA0: D3B1407E 1802FD04
	v_pk_mul_f32 v[198:199], v[4:5], v[198:199]                // 000000004CA8: D3B140C6 18038D04
	v_mul_f32_e32 v39, v39, v230                               // 000000004CB0: 0A4FCD27
	v_mov_b32_e32 v4, v39                                      // 000000004CB4: 7E080327
	v_mov_b32_e32 v5, v4                                       // 000000004CB8: 7E0A0304
	v_pk_mul_f32 v[92:93], v[4:5], v[92:93]                    // 000000004CBC: D3B1405C 1802B904
	v_pk_mul_f32 v[164:165], v[4:5], v[164:165]                // 000000004CC4: D3B140A4 18034904
	v_pk_mul_f32 v[94:95], v[4:5], v[94:95]                    // 000000004CCC: D3B1405E 1802BD04
	v_pk_mul_f32 v[166:167], v[4:5], v[166:167]                // 000000004CD4: D3B140A6 18034D04
	v_pk_mul_f32 v[128:129], v[4:5], v[128:129]                // 000000004CDC: D3B14080 18030104
	v_pk_mul_f32 v[200:201], v[4:5], v[200:201]                // 000000004CE4: D3B140C8 18039104
	v_pk_mul_f32 v[130:131], v[4:5], v[130:131]                // 000000004CEC: D3B14082 18030504
	v_pk_mul_f32 v[202:203], v[4:5], v[202:203]                // 000000004CF4: D3B140CA 18039504
	v_mul_f32_e32 v40, v40, v231                               // 000000004CFC: 0A51CF28
	v_mov_b32_e32 v4, v40                                      // 000000004D00: 7E080328
	v_mov_b32_e32 v5, v4                                       // 000000004D04: 7E0A0304
	v_pk_mul_f32 v[96:97], v[4:5], v[96:97]                    // 000000004D08: D3B14060 1802C104
	v_pk_mul_f32 v[168:169], v[4:5], v[168:169]                // 000000004D10: D3B140A8 18035104
	v_pk_mul_f32 v[98:99], v[4:5], v[98:99]                    // 000000004D18: D3B14062 1802C504
	v_pk_mul_f32 v[170:171], v[4:5], v[170:171]                // 000000004D20: D3B140AA 18035504
	v_pk_mul_f32 v[132:133], v[4:5], v[132:133]                // 000000004D28: D3B14084 18030904
	v_pk_mul_f32 v[204:205], v[4:5], v[204:205]                // 000000004D30: D3B140CC 18039904
	v_pk_mul_f32 v[134:135], v[4:5], v[134:135]                // 000000004D38: D3B14086 18030D04
	v_pk_mul_f32 v[206:207], v[4:5], v[206:207]                // 000000004D40: D3B140CE 18039D04
	v_mul_f32_e32 v41, v41, v232                               // 000000004D48: 0A53D129
	v_mov_b32_e32 v4, v41                                      // 000000004D4C: 7E080329
	v_mov_b32_e32 v5, v4                                       // 000000004D50: 7E0A0304
	v_pk_mul_f32 v[100:101], v[4:5], v[100:101]                // 000000004D54: D3B14064 1802C904
	v_pk_mul_f32 v[172:173], v[4:5], v[172:173]                // 000000004D5C: D3B140AC 18035904
	v_pk_mul_f32 v[102:103], v[4:5], v[102:103]                // 000000004D64: D3B14066 1802CD04
	v_pk_mul_f32 v[174:175], v[4:5], v[174:175]                // 000000004D6C: D3B140AE 18035D04
	v_pk_mul_f32 v[136:137], v[4:5], v[136:137]                // 000000004D74: D3B14088 18031104
	v_pk_mul_f32 v[208:209], v[4:5], v[208:209]                // 000000004D7C: D3B140D0 1803A104
	v_pk_mul_f32 v[138:139], v[4:5], v[138:139]                // 000000004D84: D3B1408A 18031504
	v_pk_mul_f32 v[210:211], v[4:5], v[210:211]                // 000000004D8C: D3B140D2 1803A504
	v_mul_f32_e32 v42, v42, v233                               // 000000004D94: 0A55D32A
	v_mov_b32_e32 v4, v42                                      // 000000004D98: 7E08032A
	v_mov_b32_e32 v5, v4                                       // 000000004D9C: 7E0A0304
	v_pk_mul_f32 v[104:105], v[4:5], v[104:105]                // 000000004DA0: D3B14068 1802D104
	v_pk_mul_f32 v[176:177], v[4:5], v[176:177]                // 000000004DA8: D3B140B0 18036104
	v_pk_mul_f32 v[106:107], v[4:5], v[106:107]                // 000000004DB0: D3B1406A 1802D504
	v_pk_mul_f32 v[178:179], v[4:5], v[178:179]                // 000000004DB8: D3B140B2 18036504
	v_pk_mul_f32 v[140:141], v[4:5], v[140:141]                // 000000004DC0: D3B1408C 18031904
	v_pk_mul_f32 v[212:213], v[4:5], v[212:213]                // 000000004DC8: D3B140D4 1803A904
	v_pk_mul_f32 v[142:143], v[4:5], v[142:143]                // 000000004DD0: D3B1408E 18031D04
	v_pk_mul_f32 v[214:215], v[4:5], v[214:215]                // 000000004DD8: D3B140D6 1803AD04
	v_mul_f32_e32 v43, v43, v234                               // 000000004DE0: 0A57D52B
	v_mov_b32_e32 v4, v43                                      // 000000004DE4: 7E08032B
	v_mov_b32_e32 v5, v4                                       // 000000004DE8: 7E0A0304
	v_pk_mul_f32 v[108:109], v[4:5], v[108:109]                // 000000004DEC: D3B1406C 1802D904
	v_pk_mul_f32 v[180:181], v[4:5], v[180:181]                // 000000004DF4: D3B140B4 18036904
	v_pk_mul_f32 v[110:111], v[4:5], v[110:111]                // 000000004DFC: D3B1406E 1802DD04
	v_pk_mul_f32 v[182:183], v[4:5], v[182:183]                // 000000004E04: D3B140B6 18036D04
	v_pk_mul_f32 v[144:145], v[4:5], v[144:145]                // 000000004E0C: D3B14090 18032104
	v_pk_mul_f32 v[216:217], v[4:5], v[216:217]                // 000000004E14: D3B140D8 1803B104
	v_pk_mul_f32 v[146:147], v[4:5], v[146:147]                // 000000004E1C: D3B14092 18032504
	v_pk_mul_f32 v[218:219], v[4:5], v[218:219]                // 000000004E24: D3B140DA 1803B504
	v_mul_f32_e32 v44, v44, v235                               // 000000004E2C: 0A59D72C
	v_mov_b32_e32 v4, v44                                      // 000000004E30: 7E08032C
	v_mov_b32_e32 v5, v4                                       // 000000004E34: 7E0A0304
	v_pk_mul_f32 v[112:113], v[4:5], v[112:113]                // 000000004E38: D3B14070 1802E104
	v_pk_mul_f32 v[184:185], v[4:5], v[184:185]                // 000000004E40: D3B140B8 18037104
	v_pk_mul_f32 v[114:115], v[4:5], v[114:115]                // 000000004E48: D3B14072 1802E504
	v_pk_mul_f32 v[186:187], v[4:5], v[186:187]                // 000000004E50: D3B140BA 18037504
	v_pk_mul_f32 v[148:149], v[4:5], v[148:149]                // 000000004E58: D3B14094 18032904
	v_pk_mul_f32 v[220:221], v[4:5], v[220:221]                // 000000004E60: D3B140DC 1803B904
	v_pk_mul_f32 v[150:151], v[4:5], v[150:151]                // 000000004E68: D3B14096 18032D04
	v_pk_mul_f32 v[222:223], v[4:5], v[222:223]                // 000000004E70: D3B140DE 1803BD04
	v_mul_f32_e32 v45, v45, v236                               // 000000004E78: 0A5BD92D
	v_mov_b32_e32 v4, v45                                      // 000000004E7C: 7E08032D
	v_mov_b32_e32 v5, v4                                       // 000000004E80: 7E0A0304
	v_pk_mul_f32 v[116:117], v[4:5], v[116:117]                // 000000004E84: D3B14074 1802E904
	v_pk_mul_f32 v[188:189], v[4:5], v[188:189]                // 000000004E8C: D3B140BC 18037904
	v_pk_mul_f32 v[118:119], v[4:5], v[118:119]                // 000000004E94: D3B14076 1802ED04
	v_pk_mul_f32 v[190:191], v[4:5], v[190:191]                // 000000004E9C: D3B140BE 18037D04
	v_pk_mul_f32 v[152:153], v[4:5], v[152:153]                // 000000004EA4: D3B14098 18033104
	v_pk_mul_f32 v[224:225], v[4:5], v[224:225]                // 000000004EAC: D3B140E0 1803C104
	v_pk_mul_f32 v[154:155], v[4:5], v[154:155]                // 000000004EB4: D3B1409A 18033504
	v_pk_mul_f32 v[226:227], v[4:5], v[226:227]                // 000000004EBC: D3B140E2 1803C504
	s_cmp_eq_u32 s88, 0                                        // 000000004EC4: BF068058
	s_cbranch_scc0 label_13BC                                  // 000000004EC8: BF840A89
	s_cmp_eq_u32 s89, 0                                        // 000000004ECC: BF068059
	s_cbranch_scc1 label_0C0A                                  // 000000004ED0: BF8502D5
	v_mov_b32_e32 v8, v1                                       // 000000004ED4: 7E100301
	v_mov_b32_e32 v9, v1                                       // 000000004ED8: 7E120301
	s_mov_b32 s60, s6                                          // 000000004EDC: BEBC0006
	s_mov_b32 s61, s6                                          // 000000004EE0: BEBD0006
	v_pk_mul_f32 v[4:5], v[84:85], v[84:85]                    // 000000004EE4: D3B14004 1802A954
	v_pk_mul_f32 v[6:7], v[86:87], v[86:87]                    // 000000004EEC: D3B14006 1802AD56
	v_pk_fma_f32 v[4:5], v[4:5], s[78:79], v[8:9]              // 000000004EF4: D3B04004 1C209D04
	v_pk_fma_f32 v[6:7], v[6:7], s[78:79], v[8:9]              // 000000004EFC: D3B04006 1C209D06
	v_pk_mul_f32 v[4:5], v[4:5], v[84:85]                      // 000000004F04: D3B14004 1802A904
	v_pk_mul_f32 v[6:7], v[6:7], v[86:87]                      // 000000004F0C: D3B14006 1802AD06
	v_pk_mul_f32 v[4:5], v[4:5], s[60:61]                      // 000000004F14: D3B14004 18007904
	v_pk_mul_f32 v[6:7], v[6:7], s[60:61]                      // 000000004F1C: D3B14006 18007906
	v_exp_f32_e32 v4, v4                                       // 000000004F24: 7E084104
	v_exp_f32_e32 v5, v5                                       // 000000004F28: 7E0A4105
	v_exp_f32_e32 v6, v6                                       // 000000004F2C: 7E0C4106
	v_exp_f32_e32 v7, v7                                       // 000000004F30: 7E0E4107
	v_add_f32_e64 v4, v4, 1.0                                  // 000000004F34: D1010004 0001E504
	v_add_f32_e64 v5, v5, 1.0                                  // 000000004F3C: D1010005 0001E505
	v_add_f32_e64 v6, v6, 1.0                                  // 000000004F44: D1010006 0001E506
	v_add_f32_e64 v7, v7, 1.0                                  // 000000004F4C: D1010007 0001E507
	v_rcp_f32_e32 v4, v4                                       // 000000004F54: 7E084504
	v_rcp_f32_e32 v5, v5                                       // 000000004F58: 7E0A4505
	v_rcp_f32_e32 v6, v6                                       // 000000004F5C: 7E0C4506
	v_rcp_f32_e32 v7, v7                                       // 000000004F60: 7E0E4507
	v_mul_f32_e32 v84, v84, v4                                 // 000000004F64: 0AA80954
	v_mul_f32_e32 v85, v85, v5                                 // 000000004F68: 0AAA0B55
	v_mul_f32_e32 v86, v86, v6                                 // 000000004F6C: 0AAC0D56
	v_mul_f32_e32 v87, v87, v7                                 // 000000004F70: 0AAE0F57
	v_mul_f32_e32 v84, v84, v156                               // 000000004F74: 0AA93954
	v_mul_f32_e32 v85, v85, v157                               // 000000004F78: 0AAB3B55
	v_mul_f32_e32 v86, v86, v158                               // 000000004F7C: 0AAD3D56
	v_mul_f32_e32 v87, v87, v159                               // 000000004F80: 0AAF3F57
	v_pk_mul_f32 v[4:5], v[88:89], v[88:89]                    // 000000004F84: D3B14004 1802B158
	v_pk_mul_f32 v[6:7], v[90:91], v[90:91]                    // 000000004F8C: D3B14006 1802B55A
	v_pk_fma_f32 v[4:5], v[4:5], s[78:79], v[8:9]              // 000000004F94: D3B04004 1C209D04
	v_pk_fma_f32 v[6:7], v[6:7], s[78:79], v[8:9]              // 000000004F9C: D3B04006 1C209D06
	v_pk_mul_f32 v[4:5], v[4:5], v[88:89]                      // 000000004FA4: D3B14004 1802B104
	v_pk_mul_f32 v[6:7], v[6:7], v[90:91]                      // 000000004FAC: D3B14006 1802B506
	v_pk_mul_f32 v[4:5], v[4:5], s[60:61]                      // 000000004FB4: D3B14004 18007904
	v_pk_mul_f32 v[6:7], v[6:7], s[60:61]                      // 000000004FBC: D3B14006 18007906
	v_exp_f32_e32 v4, v4                                       // 000000004FC4: 7E084104
	v_exp_f32_e32 v5, v5                                       // 000000004FC8: 7E0A4105
	v_exp_f32_e32 v6, v6                                       // 000000004FCC: 7E0C4106
	v_exp_f32_e32 v7, v7                                       // 000000004FD0: 7E0E4107
	v_add_f32_e64 v4, v4, 1.0                                  // 000000004FD4: D1010004 0001E504
	v_add_f32_e64 v5, v5, 1.0                                  // 000000004FDC: D1010005 0001E505
	v_add_f32_e64 v6, v6, 1.0                                  // 000000004FE4: D1010006 0001E506
	v_add_f32_e64 v7, v7, 1.0                                  // 000000004FEC: D1010007 0001E507
	v_rcp_f32_e32 v4, v4                                       // 000000004FF4: 7E084504
	v_rcp_f32_e32 v5, v5                                       // 000000004FF8: 7E0A4505
	v_rcp_f32_e32 v6, v6                                       // 000000004FFC: 7E0C4506
	v_rcp_f32_e32 v7, v7                                       // 000000005000: 7E0E4507
	v_mul_f32_e32 v88, v88, v4                                 // 000000005004: 0AB00958
	v_mul_f32_e32 v89, v89, v5                                 // 000000005008: 0AB20B59
	v_mul_f32_e32 v90, v90, v6                                 // 00000000500C: 0AB40D5A
	v_mul_f32_e32 v91, v91, v7                                 // 000000005010: 0AB60F5B
	v_mul_f32_e32 v88, v88, v160                               // 000000005014: 0AB14158
	v_mul_f32_e32 v89, v89, v161                               // 000000005018: 0AB34359
	v_mul_f32_e32 v90, v90, v162                               // 00000000501C: 0AB5455A
	v_mul_f32_e32 v91, v91, v163                               // 000000005020: 0AB7475B
	v_pk_mul_f32 v[4:5], v[92:93], v[92:93]                    // 000000005024: D3B14004 1802B95C
	v_pk_mul_f32 v[6:7], v[94:95], v[94:95]                    // 00000000502C: D3B14006 1802BD5E
	v_pk_fma_f32 v[4:5], v[4:5], s[78:79], v[8:9]              // 000000005034: D3B04004 1C209D04
	v_pk_fma_f32 v[6:7], v[6:7], s[78:79], v[8:9]              // 00000000503C: D3B04006 1C209D06
	v_pk_mul_f32 v[4:5], v[4:5], v[92:93]                      // 000000005044: D3B14004 1802B904
	v_pk_mul_f32 v[6:7], v[6:7], v[94:95]                      // 00000000504C: D3B14006 1802BD06
	v_pk_mul_f32 v[4:5], v[4:5], s[60:61]                      // 000000005054: D3B14004 18007904
	v_pk_mul_f32 v[6:7], v[6:7], s[60:61]                      // 00000000505C: D3B14006 18007906
	v_exp_f32_e32 v4, v4                                       // 000000005064: 7E084104
	v_exp_f32_e32 v5, v5                                       // 000000005068: 7E0A4105
	v_exp_f32_e32 v6, v6                                       // 00000000506C: 7E0C4106
	v_exp_f32_e32 v7, v7                                       // 000000005070: 7E0E4107
	v_add_f32_e64 v4, v4, 1.0                                  // 000000005074: D1010004 0001E504
	v_add_f32_e64 v5, v5, 1.0                                  // 00000000507C: D1010005 0001E505
	v_add_f32_e64 v6, v6, 1.0                                  // 000000005084: D1010006 0001E506
	v_add_f32_e64 v7, v7, 1.0                                  // 00000000508C: D1010007 0001E507
	v_rcp_f32_e32 v4, v4                                       // 000000005094: 7E084504
	v_rcp_f32_e32 v5, v5                                       // 000000005098: 7E0A4505
	v_rcp_f32_e32 v6, v6                                       // 00000000509C: 7E0C4506
	v_rcp_f32_e32 v7, v7                                       // 0000000050A0: 7E0E4507
	v_mul_f32_e32 v92, v92, v4                                 // 0000000050A4: 0AB8095C
	v_mul_f32_e32 v93, v93, v5                                 // 0000000050A8: 0ABA0B5D
	v_mul_f32_e32 v94, v94, v6                                 // 0000000050AC: 0ABC0D5E
	v_mul_f32_e32 v95, v95, v7                                 // 0000000050B0: 0ABE0F5F
	v_mul_f32_e32 v92, v92, v164                               // 0000000050B4: 0AB9495C
	v_mul_f32_e32 v93, v93, v165                               // 0000000050B8: 0ABB4B5D
	v_mul_f32_e32 v94, v94, v166                               // 0000000050BC: 0ABD4D5E
	v_mul_f32_e32 v95, v95, v167                               // 0000000050C0: 0ABF4F5F
	v_pk_mul_f32 v[4:5], v[96:97], v[96:97]                    // 0000000050C4: D3B14004 1802C160
	v_pk_mul_f32 v[6:7], v[98:99], v[98:99]                    // 0000000050CC: D3B14006 1802C562
	v_pk_fma_f32 v[4:5], v[4:5], s[78:79], v[8:9]              // 0000000050D4: D3B04004 1C209D04
	v_pk_fma_f32 v[6:7], v[6:7], s[78:79], v[8:9]              // 0000000050DC: D3B04006 1C209D06
	v_pk_mul_f32 v[4:5], v[4:5], v[96:97]                      // 0000000050E4: D3B14004 1802C104
	v_pk_mul_f32 v[6:7], v[6:7], v[98:99]                      // 0000000050EC: D3B14006 1802C506
	v_pk_mul_f32 v[4:5], v[4:5], s[60:61]                      // 0000000050F4: D3B14004 18007904
	v_pk_mul_f32 v[6:7], v[6:7], s[60:61]                      // 0000000050FC: D3B14006 18007906
	v_exp_f32_e32 v4, v4                                       // 000000005104: 7E084104
	v_exp_f32_e32 v5, v5                                       // 000000005108: 7E0A4105
	v_exp_f32_e32 v6, v6                                       // 00000000510C: 7E0C4106
	v_exp_f32_e32 v7, v7                                       // 000000005110: 7E0E4107
	v_add_f32_e64 v4, v4, 1.0                                  // 000000005114: D1010004 0001E504
	v_add_f32_e64 v5, v5, 1.0                                  // 00000000511C: D1010005 0001E505
	v_add_f32_e64 v6, v6, 1.0                                  // 000000005124: D1010006 0001E506
	v_add_f32_e64 v7, v7, 1.0                                  // 00000000512C: D1010007 0001E507
	v_rcp_f32_e32 v4, v4                                       // 000000005134: 7E084504
	v_rcp_f32_e32 v5, v5                                       // 000000005138: 7E0A4505
	v_rcp_f32_e32 v6, v6                                       // 00000000513C: 7E0C4506
	v_rcp_f32_e32 v7, v7                                       // 000000005140: 7E0E4507
	v_mul_f32_e32 v96, v96, v4                                 // 000000005144: 0AC00960
	v_mul_f32_e32 v97, v97, v5                                 // 000000005148: 0AC20B61
	v_mul_f32_e32 v98, v98, v6                                 // 00000000514C: 0AC40D62
	v_mul_f32_e32 v99, v99, v7                                 // 000000005150: 0AC60F63
	v_mul_f32_e32 v96, v96, v168                               // 000000005154: 0AC15160
	v_mul_f32_e32 v97, v97, v169                               // 000000005158: 0AC35361
	v_mul_f32_e32 v98, v98, v170                               // 00000000515C: 0AC55562
	v_mul_f32_e32 v99, v99, v171                               // 000000005160: 0AC75763
	v_pk_mul_f32 v[4:5], v[100:101], v[100:101]                // 000000005164: D3B14004 1802C964
	v_pk_mul_f32 v[6:7], v[102:103], v[102:103]                // 00000000516C: D3B14006 1802CD66
	v_pk_fma_f32 v[4:5], v[4:5], s[78:79], v[8:9]              // 000000005174: D3B04004 1C209D04
	v_pk_fma_f32 v[6:7], v[6:7], s[78:79], v[8:9]              // 00000000517C: D3B04006 1C209D06
	v_pk_mul_f32 v[4:5], v[4:5], v[100:101]                    // 000000005184: D3B14004 1802C904
	v_pk_mul_f32 v[6:7], v[6:7], v[102:103]                    // 00000000518C: D3B14006 1802CD06
	v_pk_mul_f32 v[4:5], v[4:5], s[60:61]                      // 000000005194: D3B14004 18007904
	v_pk_mul_f32 v[6:7], v[6:7], s[60:61]                      // 00000000519C: D3B14006 18007906
	v_exp_f32_e32 v4, v4                                       // 0000000051A4: 7E084104
	v_exp_f32_e32 v5, v5                                       // 0000000051A8: 7E0A4105
	v_exp_f32_e32 v6, v6                                       // 0000000051AC: 7E0C4106
	v_exp_f32_e32 v7, v7                                       // 0000000051B0: 7E0E4107
	v_add_f32_e64 v4, v4, 1.0                                  // 0000000051B4: D1010004 0001E504
	v_add_f32_e64 v5, v5, 1.0                                  // 0000000051BC: D1010005 0001E505
	v_add_f32_e64 v6, v6, 1.0                                  // 0000000051C4: D1010006 0001E506
	v_add_f32_e64 v7, v7, 1.0                                  // 0000000051CC: D1010007 0001E507
	v_rcp_f32_e32 v4, v4                                       // 0000000051D4: 7E084504
	v_rcp_f32_e32 v5, v5                                       // 0000000051D8: 7E0A4505
	v_rcp_f32_e32 v6, v6                                       // 0000000051DC: 7E0C4506
	v_rcp_f32_e32 v7, v7                                       // 0000000051E0: 7E0E4507
	v_mul_f32_e32 v100, v100, v4                               // 0000000051E4: 0AC80964
	v_mul_f32_e32 v101, v101, v5                               // 0000000051E8: 0ACA0B65
	v_mul_f32_e32 v102, v102, v6                               // 0000000051EC: 0ACC0D66
	v_mul_f32_e32 v103, v103, v7                               // 0000000051F0: 0ACE0F67
	v_mul_f32_e32 v100, v100, v172                             // 0000000051F4: 0AC95964
	v_mul_f32_e32 v101, v101, v173                             // 0000000051F8: 0ACB5B65
	v_mul_f32_e32 v102, v102, v174                             // 0000000051FC: 0ACD5D66
	v_mul_f32_e32 v103, v103, v175                             // 000000005200: 0ACF5F67
	v_pk_mul_f32 v[4:5], v[104:105], v[104:105]                // 000000005204: D3B14004 1802D168
	v_pk_mul_f32 v[6:7], v[106:107], v[106:107]                // 00000000520C: D3B14006 1802D56A
	v_pk_fma_f32 v[4:5], v[4:5], s[78:79], v[8:9]              // 000000005214: D3B04004 1C209D04
	v_pk_fma_f32 v[6:7], v[6:7], s[78:79], v[8:9]              // 00000000521C: D3B04006 1C209D06
	v_pk_mul_f32 v[4:5], v[4:5], v[104:105]                    // 000000005224: D3B14004 1802D104
	v_pk_mul_f32 v[6:7], v[6:7], v[106:107]                    // 00000000522C: D3B14006 1802D506
	v_pk_mul_f32 v[4:5], v[4:5], s[60:61]                      // 000000005234: D3B14004 18007904
	v_pk_mul_f32 v[6:7], v[6:7], s[60:61]                      // 00000000523C: D3B14006 18007906
	v_exp_f32_e32 v4, v4                                       // 000000005244: 7E084104
	v_exp_f32_e32 v5, v5                                       // 000000005248: 7E0A4105
	v_exp_f32_e32 v6, v6                                       // 00000000524C: 7E0C4106
	v_exp_f32_e32 v7, v7                                       // 000000005250: 7E0E4107
	v_add_f32_e64 v4, v4, 1.0                                  // 000000005254: D1010004 0001E504
	v_add_f32_e64 v5, v5, 1.0                                  // 00000000525C: D1010005 0001E505
	v_add_f32_e64 v6, v6, 1.0                                  // 000000005264: D1010006 0001E506
	v_add_f32_e64 v7, v7, 1.0                                  // 00000000526C: D1010007 0001E507
	v_rcp_f32_e32 v4, v4                                       // 000000005274: 7E084504
	v_rcp_f32_e32 v5, v5                                       // 000000005278: 7E0A4505
	v_rcp_f32_e32 v6, v6                                       // 00000000527C: 7E0C4506
	v_rcp_f32_e32 v7, v7                                       // 000000005280: 7E0E4507
	v_mul_f32_e32 v104, v104, v4                               // 000000005284: 0AD00968
	v_mul_f32_e32 v105, v105, v5                               // 000000005288: 0AD20B69
	v_mul_f32_e32 v106, v106, v6                               // 00000000528C: 0AD40D6A
	v_mul_f32_e32 v107, v107, v7                               // 000000005290: 0AD60F6B
	v_mul_f32_e32 v104, v104, v176                             // 000000005294: 0AD16168
	v_mul_f32_e32 v105, v105, v177                             // 000000005298: 0AD36369
	v_mul_f32_e32 v106, v106, v178                             // 00000000529C: 0AD5656A
	v_mul_f32_e32 v107, v107, v179                             // 0000000052A0: 0AD7676B
	v_pk_mul_f32 v[4:5], v[108:109], v[108:109]                // 0000000052A4: D3B14004 1802D96C
	v_pk_mul_f32 v[6:7], v[110:111], v[110:111]                // 0000000052AC: D3B14006 1802DD6E
	v_pk_fma_f32 v[4:5], v[4:5], s[78:79], v[8:9]              // 0000000052B4: D3B04004 1C209D04
	v_pk_fma_f32 v[6:7], v[6:7], s[78:79], v[8:9]              // 0000000052BC: D3B04006 1C209D06
	v_pk_mul_f32 v[4:5], v[4:5], v[108:109]                    // 0000000052C4: D3B14004 1802D904
	v_pk_mul_f32 v[6:7], v[6:7], v[110:111]                    // 0000000052CC: D3B14006 1802DD06
	v_pk_mul_f32 v[4:5], v[4:5], s[60:61]                      // 0000000052D4: D3B14004 18007904
	v_pk_mul_f32 v[6:7], v[6:7], s[60:61]                      // 0000000052DC: D3B14006 18007906
	v_exp_f32_e32 v4, v4                                       // 0000000052E4: 7E084104
	v_exp_f32_e32 v5, v5                                       // 0000000052E8: 7E0A4105
	v_exp_f32_e32 v6, v6                                       // 0000000052EC: 7E0C4106
	v_exp_f32_e32 v7, v7                                       // 0000000052F0: 7E0E4107
	v_add_f32_e64 v4, v4, 1.0                                  // 0000000052F4: D1010004 0001E504
	v_add_f32_e64 v5, v5, 1.0                                  // 0000000052FC: D1010005 0001E505
	v_add_f32_e64 v6, v6, 1.0                                  // 000000005304: D1010006 0001E506
	v_add_f32_e64 v7, v7, 1.0                                  // 00000000530C: D1010007 0001E507
	v_rcp_f32_e32 v4, v4                                       // 000000005314: 7E084504
	v_rcp_f32_e32 v5, v5                                       // 000000005318: 7E0A4505
	v_rcp_f32_e32 v6, v6                                       // 00000000531C: 7E0C4506
	v_rcp_f32_e32 v7, v7                                       // 000000005320: 7E0E4507
	v_mul_f32_e32 v108, v108, v4                               // 000000005324: 0AD8096C
	v_mul_f32_e32 v109, v109, v5                               // 000000005328: 0ADA0B6D
	v_mul_f32_e32 v110, v110, v6                               // 00000000532C: 0ADC0D6E
	v_mul_f32_e32 v111, v111, v7                               // 000000005330: 0ADE0F6F
	v_mul_f32_e32 v108, v108, v180                             // 000000005334: 0AD9696C
	v_mul_f32_e32 v109, v109, v181                             // 000000005338: 0ADB6B6D
	v_mul_f32_e32 v110, v110, v182                             // 00000000533C: 0ADD6D6E
	v_mul_f32_e32 v111, v111, v183                             // 000000005340: 0ADF6F6F
	v_pk_mul_f32 v[4:5], v[112:113], v[112:113]                // 000000005344: D3B14004 1802E170
	v_pk_mul_f32 v[6:7], v[114:115], v[114:115]                // 00000000534C: D3B14006 1802E572
	v_pk_fma_f32 v[4:5], v[4:5], s[78:79], v[8:9]              // 000000005354: D3B04004 1C209D04
	v_pk_fma_f32 v[6:7], v[6:7], s[78:79], v[8:9]              // 00000000535C: D3B04006 1C209D06
	v_pk_mul_f32 v[4:5], v[4:5], v[112:113]                    // 000000005364: D3B14004 1802E104
	v_pk_mul_f32 v[6:7], v[6:7], v[114:115]                    // 00000000536C: D3B14006 1802E506
	v_pk_mul_f32 v[4:5], v[4:5], s[60:61]                      // 000000005374: D3B14004 18007904
	v_pk_mul_f32 v[6:7], v[6:7], s[60:61]                      // 00000000537C: D3B14006 18007906
	v_exp_f32_e32 v4, v4                                       // 000000005384: 7E084104
	v_exp_f32_e32 v5, v5                                       // 000000005388: 7E0A4105
	v_exp_f32_e32 v6, v6                                       // 00000000538C: 7E0C4106
	v_exp_f32_e32 v7, v7                                       // 000000005390: 7E0E4107
	v_add_f32_e64 v4, v4, 1.0                                  // 000000005394: D1010004 0001E504
	v_add_f32_e64 v5, v5, 1.0                                  // 00000000539C: D1010005 0001E505
	v_add_f32_e64 v6, v6, 1.0                                  // 0000000053A4: D1010006 0001E506
	v_add_f32_e64 v7, v7, 1.0                                  // 0000000053AC: D1010007 0001E507
	v_rcp_f32_e32 v4, v4                                       // 0000000053B4: 7E084504
	v_rcp_f32_e32 v5, v5                                       // 0000000053B8: 7E0A4505
	v_rcp_f32_e32 v6, v6                                       // 0000000053BC: 7E0C4506
	v_rcp_f32_e32 v7, v7                                       // 0000000053C0: 7E0E4507
	v_mul_f32_e32 v112, v112, v4                               // 0000000053C4: 0AE00970
	v_mul_f32_e32 v113, v113, v5                               // 0000000053C8: 0AE20B71
	v_mul_f32_e32 v114, v114, v6                               // 0000000053CC: 0AE40D72
	v_mul_f32_e32 v115, v115, v7                               // 0000000053D0: 0AE60F73
	v_mul_f32_e32 v112, v112, v184                             // 0000000053D4: 0AE17170
	v_mul_f32_e32 v113, v113, v185                             // 0000000053D8: 0AE37371
	v_mul_f32_e32 v114, v114, v186                             // 0000000053DC: 0AE57572
	v_mul_f32_e32 v115, v115, v187                             // 0000000053E0: 0AE77773
	v_pk_mul_f32 v[4:5], v[116:117], v[116:117]                // 0000000053E4: D3B14004 1802E974
	v_pk_mul_f32 v[6:7], v[118:119], v[118:119]                // 0000000053EC: D3B14006 1802ED76
	v_pk_fma_f32 v[4:5], v[4:5], s[78:79], v[8:9]              // 0000000053F4: D3B04004 1C209D04
	v_pk_fma_f32 v[6:7], v[6:7], s[78:79], v[8:9]              // 0000000053FC: D3B04006 1C209D06
	v_pk_mul_f32 v[4:5], v[4:5], v[116:117]                    // 000000005404: D3B14004 1802E904
	v_pk_mul_f32 v[6:7], v[6:7], v[118:119]                    // 00000000540C: D3B14006 1802ED06
	v_pk_mul_f32 v[4:5], v[4:5], s[60:61]                      // 000000005414: D3B14004 18007904
	v_pk_mul_f32 v[6:7], v[6:7], s[60:61]                      // 00000000541C: D3B14006 18007906
	v_exp_f32_e32 v4, v4                                       // 000000005424: 7E084104
	v_exp_f32_e32 v5, v5                                       // 000000005428: 7E0A4105
	v_exp_f32_e32 v6, v6                                       // 00000000542C: 7E0C4106
	v_exp_f32_e32 v7, v7                                       // 000000005430: 7E0E4107
	v_add_f32_e64 v4, v4, 1.0                                  // 000000005434: D1010004 0001E504
	v_add_f32_e64 v5, v5, 1.0                                  // 00000000543C: D1010005 0001E505
	v_add_f32_e64 v6, v6, 1.0                                  // 000000005444: D1010006 0001E506
	v_add_f32_e64 v7, v7, 1.0                                  // 00000000544C: D1010007 0001E507
	v_rcp_f32_e32 v4, v4                                       // 000000005454: 7E084504
	v_rcp_f32_e32 v5, v5                                       // 000000005458: 7E0A4505
	v_rcp_f32_e32 v6, v6                                       // 00000000545C: 7E0C4506
	v_rcp_f32_e32 v7, v7                                       // 000000005460: 7E0E4507
	v_mul_f32_e32 v116, v116, v4                               // 000000005464: 0AE80974
	v_mul_f32_e32 v117, v117, v5                               // 000000005468: 0AEA0B75
	v_mul_f32_e32 v118, v118, v6                               // 00000000546C: 0AEC0D76
	v_mul_f32_e32 v119, v119, v7                               // 000000005470: 0AEE0F77
	v_mul_f32_e32 v116, v116, v188                             // 000000005474: 0AE97974
	v_mul_f32_e32 v117, v117, v189                             // 000000005478: 0AEB7B75
	v_mul_f32_e32 v118, v118, v190                             // 00000000547C: 0AED7D76
	v_mul_f32_e32 v119, v119, v191                             // 000000005480: 0AEF7F77
	v_pk_mul_f32 v[4:5], v[120:121], v[120:121]                // 000000005484: D3B14004 1802F178
	v_pk_mul_f32 v[6:7], v[122:123], v[122:123]                // 00000000548C: D3B14006 1802F57A
	v_pk_fma_f32 v[4:5], v[4:5], s[78:79], v[8:9]              // 000000005494: D3B04004 1C209D04
	v_pk_fma_f32 v[6:7], v[6:7], s[78:79], v[8:9]              // 00000000549C: D3B04006 1C209D06
	v_pk_mul_f32 v[4:5], v[4:5], v[120:121]                    // 0000000054A4: D3B14004 1802F104
	v_pk_mul_f32 v[6:7], v[6:7], v[122:123]                    // 0000000054AC: D3B14006 1802F506
	v_pk_mul_f32 v[4:5], v[4:5], s[60:61]                      // 0000000054B4: D3B14004 18007904
	v_pk_mul_f32 v[6:7], v[6:7], s[60:61]                      // 0000000054BC: D3B14006 18007906
	v_exp_f32_e32 v4, v4                                       // 0000000054C4: 7E084104
	v_exp_f32_e32 v5, v5                                       // 0000000054C8: 7E0A4105
	v_exp_f32_e32 v6, v6                                       // 0000000054CC: 7E0C4106
	v_exp_f32_e32 v7, v7                                       // 0000000054D0: 7E0E4107
	v_add_f32_e64 v4, v4, 1.0                                  // 0000000054D4: D1010004 0001E504
	v_add_f32_e64 v5, v5, 1.0                                  // 0000000054DC: D1010005 0001E505
	v_add_f32_e64 v6, v6, 1.0                                  // 0000000054E4: D1010006 0001E506
	v_add_f32_e64 v7, v7, 1.0                                  // 0000000054EC: D1010007 0001E507
	v_rcp_f32_e32 v4, v4                                       // 0000000054F4: 7E084504
	v_rcp_f32_e32 v5, v5                                       // 0000000054F8: 7E0A4505
	v_rcp_f32_e32 v6, v6                                       // 0000000054FC: 7E0C4506
	v_rcp_f32_e32 v7, v7                                       // 000000005500: 7E0E4507
	v_mul_f32_e32 v120, v120, v4                               // 000000005504: 0AF00978
	v_mul_f32_e32 v121, v121, v5                               // 000000005508: 0AF20B79
	v_mul_f32_e32 v122, v122, v6                               // 00000000550C: 0AF40D7A
	v_mul_f32_e32 v123, v123, v7                               // 000000005510: 0AF60F7B
	v_mul_f32_e32 v120, v120, v192                             // 000000005514: 0AF18178
	v_mul_f32_e32 v121, v121, v193                             // 000000005518: 0AF38379
	v_mul_f32_e32 v122, v122, v194                             // 00000000551C: 0AF5857A
	v_mul_f32_e32 v123, v123, v195                             // 000000005520: 0AF7877B
	v_pk_mul_f32 v[4:5], v[124:125], v[124:125]                // 000000005524: D3B14004 1802F97C
	v_pk_mul_f32 v[6:7], v[126:127], v[126:127]                // 00000000552C: D3B14006 1802FD7E
	v_pk_fma_f32 v[4:5], v[4:5], s[78:79], v[8:9]              // 000000005534: D3B04004 1C209D04
	v_pk_fma_f32 v[6:7], v[6:7], s[78:79], v[8:9]              // 00000000553C: D3B04006 1C209D06
	v_pk_mul_f32 v[4:5], v[4:5], v[124:125]                    // 000000005544: D3B14004 1802F904
	v_pk_mul_f32 v[6:7], v[6:7], v[126:127]                    // 00000000554C: D3B14006 1802FD06
	v_pk_mul_f32 v[4:5], v[4:5], s[60:61]                      // 000000005554: D3B14004 18007904
	v_pk_mul_f32 v[6:7], v[6:7], s[60:61]                      // 00000000555C: D3B14006 18007906
	v_exp_f32_e32 v4, v4                                       // 000000005564: 7E084104
	v_exp_f32_e32 v5, v5                                       // 000000005568: 7E0A4105
	v_exp_f32_e32 v6, v6                                       // 00000000556C: 7E0C4106
	v_exp_f32_e32 v7, v7                                       // 000000005570: 7E0E4107
	v_add_f32_e64 v4, v4, 1.0                                  // 000000005574: D1010004 0001E504
	v_add_f32_e64 v5, v5, 1.0                                  // 00000000557C: D1010005 0001E505
	v_add_f32_e64 v6, v6, 1.0                                  // 000000005584: D1010006 0001E506
	v_add_f32_e64 v7, v7, 1.0                                  // 00000000558C: D1010007 0001E507
	v_rcp_f32_e32 v4, v4                                       // 000000005594: 7E084504
	v_rcp_f32_e32 v5, v5                                       // 000000005598: 7E0A4505
	v_rcp_f32_e32 v6, v6                                       // 00000000559C: 7E0C4506
	v_rcp_f32_e32 v7, v7                                       // 0000000055A0: 7E0E4507
	v_mul_f32_e32 v124, v124, v4                               // 0000000055A4: 0AF8097C
	v_mul_f32_e32 v125, v125, v5                               // 0000000055A8: 0AFA0B7D
	v_mul_f32_e32 v126, v126, v6                               // 0000000055AC: 0AFC0D7E
	v_mul_f32_e32 v127, v127, v7                               // 0000000055B0: 0AFE0F7F
	v_mul_f32_e32 v124, v124, v196                             // 0000000055B4: 0AF9897C
	v_mul_f32_e32 v125, v125, v197                             // 0000000055B8: 0AFB8B7D
	v_mul_f32_e32 v126, v126, v198                             // 0000000055BC: 0AFD8D7E
	v_mul_f32_e32 v127, v127, v199                             // 0000000055C0: 0AFF8F7F
	v_pk_mul_f32 v[4:5], v[128:129], v[128:129]                // 0000000055C4: D3B14004 18030180
	v_pk_mul_f32 v[6:7], v[130:131], v[130:131]                // 0000000055CC: D3B14006 18030582
	v_pk_fma_f32 v[4:5], v[4:5], s[78:79], v[8:9]              // 0000000055D4: D3B04004 1C209D04
	v_pk_fma_f32 v[6:7], v[6:7], s[78:79], v[8:9]              // 0000000055DC: D3B04006 1C209D06
	v_pk_mul_f32 v[4:5], v[4:5], v[128:129]                    // 0000000055E4: D3B14004 18030104
	v_pk_mul_f32 v[6:7], v[6:7], v[130:131]                    // 0000000055EC: D3B14006 18030506
	v_pk_mul_f32 v[4:5], v[4:5], s[60:61]                      // 0000000055F4: D3B14004 18007904
	v_pk_mul_f32 v[6:7], v[6:7], s[60:61]                      // 0000000055FC: D3B14006 18007906
	v_exp_f32_e32 v4, v4                                       // 000000005604: 7E084104
	v_exp_f32_e32 v5, v5                                       // 000000005608: 7E0A4105
	v_exp_f32_e32 v6, v6                                       // 00000000560C: 7E0C4106
	v_exp_f32_e32 v7, v7                                       // 000000005610: 7E0E4107
	v_add_f32_e64 v4, v4, 1.0                                  // 000000005614: D1010004 0001E504
	v_add_f32_e64 v5, v5, 1.0                                  // 00000000561C: D1010005 0001E505
	v_add_f32_e64 v6, v6, 1.0                                  // 000000005624: D1010006 0001E506
	v_add_f32_e64 v7, v7, 1.0                                  // 00000000562C: D1010007 0001E507
	v_rcp_f32_e32 v4, v4                                       // 000000005634: 7E084504
	v_rcp_f32_e32 v5, v5                                       // 000000005638: 7E0A4505
	v_rcp_f32_e32 v6, v6                                       // 00000000563C: 7E0C4506
	v_rcp_f32_e32 v7, v7                                       // 000000005640: 7E0E4507
	v_mul_f32_e32 v128, v128, v4                               // 000000005644: 0B000980
	v_mul_f32_e32 v129, v129, v5                               // 000000005648: 0B020B81
	v_mul_f32_e32 v130, v130, v6                               // 00000000564C: 0B040D82
	v_mul_f32_e32 v131, v131, v7                               // 000000005650: 0B060F83
	v_mul_f32_e32 v128, v128, v200                             // 000000005654: 0B019180
	v_mul_f32_e32 v129, v129, v201                             // 000000005658: 0B039381
	v_mul_f32_e32 v130, v130, v202                             // 00000000565C: 0B059582
	v_mul_f32_e32 v131, v131, v203                             // 000000005660: 0B079783
	v_pk_mul_f32 v[4:5], v[132:133], v[132:133]                // 000000005664: D3B14004 18030984
	v_pk_mul_f32 v[6:7], v[134:135], v[134:135]                // 00000000566C: D3B14006 18030D86
	v_pk_fma_f32 v[4:5], v[4:5], s[78:79], v[8:9]              // 000000005674: D3B04004 1C209D04
	v_pk_fma_f32 v[6:7], v[6:7], s[78:79], v[8:9]              // 00000000567C: D3B04006 1C209D06
	v_pk_mul_f32 v[4:5], v[4:5], v[132:133]                    // 000000005684: D3B14004 18030904
	v_pk_mul_f32 v[6:7], v[6:7], v[134:135]                    // 00000000568C: D3B14006 18030D06
	v_pk_mul_f32 v[4:5], v[4:5], s[60:61]                      // 000000005694: D3B14004 18007904
	v_pk_mul_f32 v[6:7], v[6:7], s[60:61]                      // 00000000569C: D3B14006 18007906
	v_exp_f32_e32 v4, v4                                       // 0000000056A4: 7E084104
	v_exp_f32_e32 v5, v5                                       // 0000000056A8: 7E0A4105
	v_exp_f32_e32 v6, v6                                       // 0000000056AC: 7E0C4106
	v_exp_f32_e32 v7, v7                                       // 0000000056B0: 7E0E4107
	v_add_f32_e64 v4, v4, 1.0                                  // 0000000056B4: D1010004 0001E504
	v_add_f32_e64 v5, v5, 1.0                                  // 0000000056BC: D1010005 0001E505
	v_add_f32_e64 v6, v6, 1.0                                  // 0000000056C4: D1010006 0001E506
	v_add_f32_e64 v7, v7, 1.0                                  // 0000000056CC: D1010007 0001E507
	v_rcp_f32_e32 v4, v4                                       // 0000000056D4: 7E084504
	v_rcp_f32_e32 v5, v5                                       // 0000000056D8: 7E0A4505
	v_rcp_f32_e32 v6, v6                                       // 0000000056DC: 7E0C4506
	v_rcp_f32_e32 v7, v7                                       // 0000000056E0: 7E0E4507
	v_mul_f32_e32 v132, v132, v4                               // 0000000056E4: 0B080984
	v_mul_f32_e32 v133, v133, v5                               // 0000000056E8: 0B0A0B85
	v_mul_f32_e32 v134, v134, v6                               // 0000000056EC: 0B0C0D86
	v_mul_f32_e32 v135, v135, v7                               // 0000000056F0: 0B0E0F87
	v_mul_f32_e32 v132, v132, v204                             // 0000000056F4: 0B099984
	v_mul_f32_e32 v133, v133, v205                             // 0000000056F8: 0B0B9B85
	v_mul_f32_e32 v134, v134, v206                             // 0000000056FC: 0B0D9D86
	v_mul_f32_e32 v135, v135, v207                             // 000000005700: 0B0F9F87
	v_pk_mul_f32 v[4:5], v[136:137], v[136:137]                // 000000005704: D3B14004 18031188
	v_pk_mul_f32 v[6:7], v[138:139], v[138:139]                // 00000000570C: D3B14006 1803158A
	v_pk_fma_f32 v[4:5], v[4:5], s[78:79], v[8:9]              // 000000005714: D3B04004 1C209D04
	v_pk_fma_f32 v[6:7], v[6:7], s[78:79], v[8:9]              // 00000000571C: D3B04006 1C209D06
	v_pk_mul_f32 v[4:5], v[4:5], v[136:137]                    // 000000005724: D3B14004 18031104
	v_pk_mul_f32 v[6:7], v[6:7], v[138:139]                    // 00000000572C: D3B14006 18031506
	v_pk_mul_f32 v[4:5], v[4:5], s[60:61]                      // 000000005734: D3B14004 18007904
	v_pk_mul_f32 v[6:7], v[6:7], s[60:61]                      // 00000000573C: D3B14006 18007906
	v_exp_f32_e32 v4, v4                                       // 000000005744: 7E084104
	v_exp_f32_e32 v5, v5                                       // 000000005748: 7E0A4105
	v_exp_f32_e32 v6, v6                                       // 00000000574C: 7E0C4106
	v_exp_f32_e32 v7, v7                                       // 000000005750: 7E0E4107
	v_add_f32_e64 v4, v4, 1.0                                  // 000000005754: D1010004 0001E504
	v_add_f32_e64 v5, v5, 1.0                                  // 00000000575C: D1010005 0001E505
	v_add_f32_e64 v6, v6, 1.0                                  // 000000005764: D1010006 0001E506
	v_add_f32_e64 v7, v7, 1.0                                  // 00000000576C: D1010007 0001E507
	v_rcp_f32_e32 v4, v4                                       // 000000005774: 7E084504
	v_rcp_f32_e32 v5, v5                                       // 000000005778: 7E0A4505
	v_rcp_f32_e32 v6, v6                                       // 00000000577C: 7E0C4506
	v_rcp_f32_e32 v7, v7                                       // 000000005780: 7E0E4507
	v_mul_f32_e32 v136, v136, v4                               // 000000005784: 0B100988
	v_mul_f32_e32 v137, v137, v5                               // 000000005788: 0B120B89
	v_mul_f32_e32 v138, v138, v6                               // 00000000578C: 0B140D8A
	v_mul_f32_e32 v139, v139, v7                               // 000000005790: 0B160F8B
	v_mul_f32_e32 v136, v136, v208                             // 000000005794: 0B11A188
	v_mul_f32_e32 v137, v137, v209                             // 000000005798: 0B13A389
	v_mul_f32_e32 v138, v138, v210                             // 00000000579C: 0B15A58A
	v_mul_f32_e32 v139, v139, v211                             // 0000000057A0: 0B17A78B
	v_pk_mul_f32 v[4:5], v[140:141], v[140:141]                // 0000000057A4: D3B14004 1803198C
	v_pk_mul_f32 v[6:7], v[142:143], v[142:143]                // 0000000057AC: D3B14006 18031D8E
	v_pk_fma_f32 v[4:5], v[4:5], s[78:79], v[8:9]              // 0000000057B4: D3B04004 1C209D04
	v_pk_fma_f32 v[6:7], v[6:7], s[78:79], v[8:9]              // 0000000057BC: D3B04006 1C209D06
	v_pk_mul_f32 v[4:5], v[4:5], v[140:141]                    // 0000000057C4: D3B14004 18031904
	v_pk_mul_f32 v[6:7], v[6:7], v[142:143]                    // 0000000057CC: D3B14006 18031D06
	v_pk_mul_f32 v[4:5], v[4:5], s[60:61]                      // 0000000057D4: D3B14004 18007904
	v_pk_mul_f32 v[6:7], v[6:7], s[60:61]                      // 0000000057DC: D3B14006 18007906
	v_exp_f32_e32 v4, v4                                       // 0000000057E4: 7E084104
	v_exp_f32_e32 v5, v5                                       // 0000000057E8: 7E0A4105
	v_exp_f32_e32 v6, v6                                       // 0000000057EC: 7E0C4106
	v_exp_f32_e32 v7, v7                                       // 0000000057F0: 7E0E4107
	v_add_f32_e64 v4, v4, 1.0                                  // 0000000057F4: D1010004 0001E504
	v_add_f32_e64 v5, v5, 1.0                                  // 0000000057FC: D1010005 0001E505
	v_add_f32_e64 v6, v6, 1.0                                  // 000000005804: D1010006 0001E506
	v_add_f32_e64 v7, v7, 1.0                                  // 00000000580C: D1010007 0001E507
	v_rcp_f32_e32 v4, v4                                       // 000000005814: 7E084504
	v_rcp_f32_e32 v5, v5                                       // 000000005818: 7E0A4505
	v_rcp_f32_e32 v6, v6                                       // 00000000581C: 7E0C4506
	v_rcp_f32_e32 v7, v7                                       // 000000005820: 7E0E4507
	v_mul_f32_e32 v140, v140, v4                               // 000000005824: 0B18098C
	v_mul_f32_e32 v141, v141, v5                               // 000000005828: 0B1A0B8D
	v_mul_f32_e32 v142, v142, v6                               // 00000000582C: 0B1C0D8E
	v_mul_f32_e32 v143, v143, v7                               // 000000005830: 0B1E0F8F
	v_mul_f32_e32 v140, v140, v212                             // 000000005834: 0B19A98C
	v_mul_f32_e32 v141, v141, v213                             // 000000005838: 0B1BAB8D
	v_mul_f32_e32 v142, v142, v214                             // 00000000583C: 0B1DAD8E
	v_mul_f32_e32 v143, v143, v215                             // 000000005840: 0B1FAF8F
	v_pk_mul_f32 v[4:5], v[144:145], v[144:145]                // 000000005844: D3B14004 18032190
	v_pk_mul_f32 v[6:7], v[146:147], v[146:147]                // 00000000584C: D3B14006 18032592
	v_pk_fma_f32 v[4:5], v[4:5], s[78:79], v[8:9]              // 000000005854: D3B04004 1C209D04
	v_pk_fma_f32 v[6:7], v[6:7], s[78:79], v[8:9]              // 00000000585C: D3B04006 1C209D06
	v_pk_mul_f32 v[4:5], v[4:5], v[144:145]                    // 000000005864: D3B14004 18032104
	v_pk_mul_f32 v[6:7], v[6:7], v[146:147]                    // 00000000586C: D3B14006 18032506
	v_pk_mul_f32 v[4:5], v[4:5], s[60:61]                      // 000000005874: D3B14004 18007904
	v_pk_mul_f32 v[6:7], v[6:7], s[60:61]                      // 00000000587C: D3B14006 18007906
	v_exp_f32_e32 v4, v4                                       // 000000005884: 7E084104
	v_exp_f32_e32 v5, v5                                       // 000000005888: 7E0A4105
	v_exp_f32_e32 v6, v6                                       // 00000000588C: 7E0C4106
	v_exp_f32_e32 v7, v7                                       // 000000005890: 7E0E4107
	v_add_f32_e64 v4, v4, 1.0                                  // 000000005894: D1010004 0001E504
	v_add_f32_e64 v5, v5, 1.0                                  // 00000000589C: D1010005 0001E505
	v_add_f32_e64 v6, v6, 1.0                                  // 0000000058A4: D1010006 0001E506
	v_add_f32_e64 v7, v7, 1.0                                  // 0000000058AC: D1010007 0001E507
	v_rcp_f32_e32 v4, v4                                       // 0000000058B4: 7E084504
	v_rcp_f32_e32 v5, v5                                       // 0000000058B8: 7E0A4505
	v_rcp_f32_e32 v6, v6                                       // 0000000058BC: 7E0C4506
	v_rcp_f32_e32 v7, v7                                       // 0000000058C0: 7E0E4507
	v_mul_f32_e32 v144, v144, v4                               // 0000000058C4: 0B200990
	v_mul_f32_e32 v145, v145, v5                               // 0000000058C8: 0B220B91
	v_mul_f32_e32 v146, v146, v6                               // 0000000058CC: 0B240D92
	v_mul_f32_e32 v147, v147, v7                               // 0000000058D0: 0B260F93
	v_mul_f32_e32 v144, v144, v216                             // 0000000058D4: 0B21B190
	v_mul_f32_e32 v145, v145, v217                             // 0000000058D8: 0B23B391
	v_mul_f32_e32 v146, v146, v218                             // 0000000058DC: 0B25B592
	v_mul_f32_e32 v147, v147, v219                             // 0000000058E0: 0B27B793
	v_pk_mul_f32 v[4:5], v[148:149], v[148:149]                // 0000000058E4: D3B14004 18032994
	v_pk_mul_f32 v[6:7], v[150:151], v[150:151]                // 0000000058EC: D3B14006 18032D96
	v_pk_fma_f32 v[4:5], v[4:5], s[78:79], v[8:9]              // 0000000058F4: D3B04004 1C209D04
	v_pk_fma_f32 v[6:7], v[6:7], s[78:79], v[8:9]              // 0000000058FC: D3B04006 1C209D06
	v_pk_mul_f32 v[4:5], v[4:5], v[148:149]                    // 000000005904: D3B14004 18032904
	v_pk_mul_f32 v[6:7], v[6:7], v[150:151]                    // 00000000590C: D3B14006 18032D06
	v_pk_mul_f32 v[4:5], v[4:5], s[60:61]                      // 000000005914: D3B14004 18007904
	v_pk_mul_f32 v[6:7], v[6:7], s[60:61]                      // 00000000591C: D3B14006 18007906
	v_exp_f32_e32 v4, v4                                       // 000000005924: 7E084104
	v_exp_f32_e32 v5, v5                                       // 000000005928: 7E0A4105
	v_exp_f32_e32 v6, v6                                       // 00000000592C: 7E0C4106
	v_exp_f32_e32 v7, v7                                       // 000000005930: 7E0E4107
	v_add_f32_e64 v4, v4, 1.0                                  // 000000005934: D1010004 0001E504
	v_add_f32_e64 v5, v5, 1.0                                  // 00000000593C: D1010005 0001E505
	v_add_f32_e64 v6, v6, 1.0                                  // 000000005944: D1010006 0001E506
	v_add_f32_e64 v7, v7, 1.0                                  // 00000000594C: D1010007 0001E507
	v_rcp_f32_e32 v4, v4                                       // 000000005954: 7E084504
	v_rcp_f32_e32 v5, v5                                       // 000000005958: 7E0A4505
	v_rcp_f32_e32 v6, v6                                       // 00000000595C: 7E0C4506
	v_rcp_f32_e32 v7, v7                                       // 000000005960: 7E0E4507
	v_mul_f32_e32 v148, v148, v4                               // 000000005964: 0B280994
	v_mul_f32_e32 v149, v149, v5                               // 000000005968: 0B2A0B95
	v_mul_f32_e32 v150, v150, v6                               // 00000000596C: 0B2C0D96
	v_mul_f32_e32 v151, v151, v7                               // 000000005970: 0B2E0F97
	v_mul_f32_e32 v148, v148, v220                             // 000000005974: 0B29B994
	v_mul_f32_e32 v149, v149, v221                             // 000000005978: 0B2BBB95
	v_mul_f32_e32 v150, v150, v222                             // 00000000597C: 0B2DBD96
	v_mul_f32_e32 v151, v151, v223                             // 000000005980: 0B2FBF97
	v_pk_mul_f32 v[4:5], v[152:153], v[152:153]                // 000000005984: D3B14004 18033198
	v_pk_mul_f32 v[6:7], v[154:155], v[154:155]                // 00000000598C: D3B14006 1803359A
	v_pk_fma_f32 v[4:5], v[4:5], s[78:79], v[8:9]              // 000000005994: D3B04004 1C209D04
	v_pk_fma_f32 v[6:7], v[6:7], s[78:79], v[8:9]              // 00000000599C: D3B04006 1C209D06
	v_pk_mul_f32 v[4:5], v[4:5], v[152:153]                    // 0000000059A4: D3B14004 18033104
	v_pk_mul_f32 v[6:7], v[6:7], v[154:155]                    // 0000000059AC: D3B14006 18033506
	v_pk_mul_f32 v[4:5], v[4:5], s[60:61]                      // 0000000059B4: D3B14004 18007904
	v_pk_mul_f32 v[6:7], v[6:7], s[60:61]                      // 0000000059BC: D3B14006 18007906
	v_exp_f32_e32 v4, v4                                       // 0000000059C4: 7E084104
	v_exp_f32_e32 v5, v5                                       // 0000000059C8: 7E0A4105
	v_exp_f32_e32 v6, v6                                       // 0000000059CC: 7E0C4106
	v_exp_f32_e32 v7, v7                                       // 0000000059D0: 7E0E4107
	v_add_f32_e64 v4, v4, 1.0                                  // 0000000059D4: D1010004 0001E504
	v_add_f32_e64 v5, v5, 1.0                                  // 0000000059DC: D1010005 0001E505
	v_add_f32_e64 v6, v6, 1.0                                  // 0000000059E4: D1010006 0001E506
	v_add_f32_e64 v7, v7, 1.0                                  // 0000000059EC: D1010007 0001E507
	v_rcp_f32_e32 v4, v4                                       // 0000000059F4: 7E084504
	v_rcp_f32_e32 v5, v5                                       // 0000000059F8: 7E0A4505
	v_rcp_f32_e32 v6, v6                                       // 0000000059FC: 7E0C4506
	v_rcp_f32_e32 v7, v7                                       // 000000005A00: 7E0E4507
	v_mul_f32_e32 v152, v152, v4                               // 000000005A04: 0B300998
	v_mul_f32_e32 v153, v153, v5                               // 000000005A08: 0B320B99
	v_mul_f32_e32 v154, v154, v6                               // 000000005A0C: 0B340D9A
	v_mul_f32_e32 v155, v155, v7                               // 000000005A10: 0B360F9B
	v_mul_f32_e32 v152, v152, v224                             // 000000005A14: 0B31C198
	v_mul_f32_e32 v153, v153, v225                             // 000000005A18: 0B33C399
	v_mul_f32_e32 v154, v154, v226                             // 000000005A1C: 0B35C59A
	v_mul_f32_e32 v155, v155, v227                             // 000000005A20: 0B37C79B
	s_branch label_0E4A                                        // 000000005A24: BF820240

0000000000005a28 <label_0C0A>:
	v_mul_f32_e64 v4, -v84, s6                                 // 000000005A28: D1050004 20000D54
	v_mul_f32_e64 v5, -v85, s6                                 // 000000005A30: D1050005 20000D55
	v_mul_f32_e64 v6, -v86, s6                                 // 000000005A38: D1050006 20000D56
	v_mul_f32_e64 v7, -v87, s6                                 // 000000005A40: D1050007 20000D57
	v_exp_f32_e32 v4, v4                                       // 000000005A48: 7E084104
	v_exp_f32_e32 v5, v5                                       // 000000005A4C: 7E0A4105
	v_exp_f32_e32 v6, v6                                       // 000000005A50: 7E0C4106
	v_exp_f32_e32 v7, v7                                       // 000000005A54: 7E0E4107
	v_add_f32_e64 v4, v4, 1.0                                  // 000000005A58: D1010004 0001E504
	v_add_f32_e64 v5, v5, 1.0                                  // 000000005A60: D1010005 0001E505
	v_add_f32_e64 v6, v6, 1.0                                  // 000000005A68: D1010006 0001E506
	v_add_f32_e64 v7, v7, 1.0                                  // 000000005A70: D1010007 0001E507
	v_rcp_f32_e32 v4, v4                                       // 000000005A78: 7E084504
	v_rcp_f32_e32 v5, v5                                       // 000000005A7C: 7E0A4505
	v_rcp_f32_e32 v6, v6                                       // 000000005A80: 7E0C4506
	v_rcp_f32_e32 v7, v7                                       // 000000005A84: 7E0E4507
	v_mul_f32_e32 v84, v84, v4                                 // 000000005A88: 0AA80954
	v_mul_f32_e32 v85, v85, v5                                 // 000000005A8C: 0AAA0B55
	v_mul_f32_e32 v86, v86, v6                                 // 000000005A90: 0AAC0D56
	v_mul_f32_e32 v87, v87, v7                                 // 000000005A94: 0AAE0F57
	v_mul_f32_e32 v84, v84, v156                               // 000000005A98: 0AA93954
	v_mul_f32_e32 v85, v85, v157                               // 000000005A9C: 0AAB3B55
	v_mul_f32_e32 v86, v86, v158                               // 000000005AA0: 0AAD3D56
	v_mul_f32_e32 v87, v87, v159                               // 000000005AA4: 0AAF3F57
	v_mul_f32_e64 v4, -v88, s6                                 // 000000005AA8: D1050004 20000D58
	v_mul_f32_e64 v5, -v89, s6                                 // 000000005AB0: D1050005 20000D59
	v_mul_f32_e64 v6, -v90, s6                                 // 000000005AB8: D1050006 20000D5A
	v_mul_f32_e64 v7, -v91, s6                                 // 000000005AC0: D1050007 20000D5B
	v_exp_f32_e32 v4, v4                                       // 000000005AC8: 7E084104
	v_exp_f32_e32 v5, v5                                       // 000000005ACC: 7E0A4105
	v_exp_f32_e32 v6, v6                                       // 000000005AD0: 7E0C4106
	v_exp_f32_e32 v7, v7                                       // 000000005AD4: 7E0E4107
	v_add_f32_e64 v4, v4, 1.0                                  // 000000005AD8: D1010004 0001E504
	v_add_f32_e64 v5, v5, 1.0                                  // 000000005AE0: D1010005 0001E505
	v_add_f32_e64 v6, v6, 1.0                                  // 000000005AE8: D1010006 0001E506
	v_add_f32_e64 v7, v7, 1.0                                  // 000000005AF0: D1010007 0001E507
	v_rcp_f32_e32 v4, v4                                       // 000000005AF8: 7E084504
	v_rcp_f32_e32 v5, v5                                       // 000000005AFC: 7E0A4505
	v_rcp_f32_e32 v6, v6                                       // 000000005B00: 7E0C4506
	v_rcp_f32_e32 v7, v7                                       // 000000005B04: 7E0E4507
	v_mul_f32_e32 v88, v88, v4                                 // 000000005B08: 0AB00958
	v_mul_f32_e32 v89, v89, v5                                 // 000000005B0C: 0AB20B59
	v_mul_f32_e32 v90, v90, v6                                 // 000000005B10: 0AB40D5A
	v_mul_f32_e32 v91, v91, v7                                 // 000000005B14: 0AB60F5B
	v_mul_f32_e32 v88, v88, v160                               // 000000005B18: 0AB14158
	v_mul_f32_e32 v89, v89, v161                               // 000000005B1C: 0AB34359
	v_mul_f32_e32 v90, v90, v162                               // 000000005B20: 0AB5455A
	v_mul_f32_e32 v91, v91, v163                               // 000000005B24: 0AB7475B
	v_mul_f32_e64 v4, -v92, s6                                 // 000000005B28: D1050004 20000D5C
	v_mul_f32_e64 v5, -v93, s6                                 // 000000005B30: D1050005 20000D5D
	v_mul_f32_e64 v6, -v94, s6                                 // 000000005B38: D1050006 20000D5E
	v_mul_f32_e64 v7, -v95, s6                                 // 000000005B40: D1050007 20000D5F
	v_exp_f32_e32 v4, v4                                       // 000000005B48: 7E084104
	v_exp_f32_e32 v5, v5                                       // 000000005B4C: 7E0A4105
	v_exp_f32_e32 v6, v6                                       // 000000005B50: 7E0C4106
	v_exp_f32_e32 v7, v7                                       // 000000005B54: 7E0E4107
	v_add_f32_e64 v4, v4, 1.0                                  // 000000005B58: D1010004 0001E504
	v_add_f32_e64 v5, v5, 1.0                                  // 000000005B60: D1010005 0001E505
	v_add_f32_e64 v6, v6, 1.0                                  // 000000005B68: D1010006 0001E506
	v_add_f32_e64 v7, v7, 1.0                                  // 000000005B70: D1010007 0001E507
	v_rcp_f32_e32 v4, v4                                       // 000000005B78: 7E084504
	v_rcp_f32_e32 v5, v5                                       // 000000005B7C: 7E0A4505
	v_rcp_f32_e32 v6, v6                                       // 000000005B80: 7E0C4506
	v_rcp_f32_e32 v7, v7                                       // 000000005B84: 7E0E4507
	v_mul_f32_e32 v92, v92, v4                                 // 000000005B88: 0AB8095C
	v_mul_f32_e32 v93, v93, v5                                 // 000000005B8C: 0ABA0B5D
	v_mul_f32_e32 v94, v94, v6                                 // 000000005B90: 0ABC0D5E
	v_mul_f32_e32 v95, v95, v7                                 // 000000005B94: 0ABE0F5F
	v_mul_f32_e32 v92, v92, v164                               // 000000005B98: 0AB9495C
	v_mul_f32_e32 v93, v93, v165                               // 000000005B9C: 0ABB4B5D
	v_mul_f32_e32 v94, v94, v166                               // 000000005BA0: 0ABD4D5E
	v_mul_f32_e32 v95, v95, v167                               // 000000005BA4: 0ABF4F5F
	v_mul_f32_e64 v4, -v96, s6                                 // 000000005BA8: D1050004 20000D60
	v_mul_f32_e64 v5, -v97, s6                                 // 000000005BB0: D1050005 20000D61
	v_mul_f32_e64 v6, -v98, s6                                 // 000000005BB8: D1050006 20000D62
	v_mul_f32_e64 v7, -v99, s6                                 // 000000005BC0: D1050007 20000D63
	v_exp_f32_e32 v4, v4                                       // 000000005BC8: 7E084104
	v_exp_f32_e32 v5, v5                                       // 000000005BCC: 7E0A4105
	v_exp_f32_e32 v6, v6                                       // 000000005BD0: 7E0C4106
	v_exp_f32_e32 v7, v7                                       // 000000005BD4: 7E0E4107
	v_add_f32_e64 v4, v4, 1.0                                  // 000000005BD8: D1010004 0001E504
	v_add_f32_e64 v5, v5, 1.0                                  // 000000005BE0: D1010005 0001E505
	v_add_f32_e64 v6, v6, 1.0                                  // 000000005BE8: D1010006 0001E506
	v_add_f32_e64 v7, v7, 1.0                                  // 000000005BF0: D1010007 0001E507
	v_rcp_f32_e32 v4, v4                                       // 000000005BF8: 7E084504
	v_rcp_f32_e32 v5, v5                                       // 000000005BFC: 7E0A4505
	v_rcp_f32_e32 v6, v6                                       // 000000005C00: 7E0C4506
	v_rcp_f32_e32 v7, v7                                       // 000000005C04: 7E0E4507
	v_mul_f32_e32 v96, v96, v4                                 // 000000005C08: 0AC00960
	v_mul_f32_e32 v97, v97, v5                                 // 000000005C0C: 0AC20B61
	v_mul_f32_e32 v98, v98, v6                                 // 000000005C10: 0AC40D62
	v_mul_f32_e32 v99, v99, v7                                 // 000000005C14: 0AC60F63
	v_mul_f32_e32 v96, v96, v168                               // 000000005C18: 0AC15160
	v_mul_f32_e32 v97, v97, v169                               // 000000005C1C: 0AC35361
	v_mul_f32_e32 v98, v98, v170                               // 000000005C20: 0AC55562
	v_mul_f32_e32 v99, v99, v171                               // 000000005C24: 0AC75763
	v_mul_f32_e64 v4, -v100, s6                                // 000000005C28: D1050004 20000D64
	v_mul_f32_e64 v5, -v101, s6                                // 000000005C30: D1050005 20000D65
	v_mul_f32_e64 v6, -v102, s6                                // 000000005C38: D1050006 20000D66
	v_mul_f32_e64 v7, -v103, s6                                // 000000005C40: D1050007 20000D67
	v_exp_f32_e32 v4, v4                                       // 000000005C48: 7E084104
	v_exp_f32_e32 v5, v5                                       // 000000005C4C: 7E0A4105
	v_exp_f32_e32 v6, v6                                       // 000000005C50: 7E0C4106
	v_exp_f32_e32 v7, v7                                       // 000000005C54: 7E0E4107
	v_add_f32_e64 v4, v4, 1.0                                  // 000000005C58: D1010004 0001E504
	v_add_f32_e64 v5, v5, 1.0                                  // 000000005C60: D1010005 0001E505
	v_add_f32_e64 v6, v6, 1.0                                  // 000000005C68: D1010006 0001E506
	v_add_f32_e64 v7, v7, 1.0                                  // 000000005C70: D1010007 0001E507
	v_rcp_f32_e32 v4, v4                                       // 000000005C78: 7E084504
	v_rcp_f32_e32 v5, v5                                       // 000000005C7C: 7E0A4505
	v_rcp_f32_e32 v6, v6                                       // 000000005C80: 7E0C4506
	v_rcp_f32_e32 v7, v7                                       // 000000005C84: 7E0E4507
	v_mul_f32_e32 v100, v100, v4                               // 000000005C88: 0AC80964
	v_mul_f32_e32 v101, v101, v5                               // 000000005C8C: 0ACA0B65
	v_mul_f32_e32 v102, v102, v6                               // 000000005C90: 0ACC0D66
	v_mul_f32_e32 v103, v103, v7                               // 000000005C94: 0ACE0F67
	v_mul_f32_e32 v100, v100, v172                             // 000000005C98: 0AC95964
	v_mul_f32_e32 v101, v101, v173                             // 000000005C9C: 0ACB5B65
	v_mul_f32_e32 v102, v102, v174                             // 000000005CA0: 0ACD5D66
	v_mul_f32_e32 v103, v103, v175                             // 000000005CA4: 0ACF5F67
	v_mul_f32_e64 v4, -v104, s6                                // 000000005CA8: D1050004 20000D68
	v_mul_f32_e64 v5, -v105, s6                                // 000000005CB0: D1050005 20000D69
	v_mul_f32_e64 v6, -v106, s6                                // 000000005CB8: D1050006 20000D6A
	v_mul_f32_e64 v7, -v107, s6                                // 000000005CC0: D1050007 20000D6B
	v_exp_f32_e32 v4, v4                                       // 000000005CC8: 7E084104
	v_exp_f32_e32 v5, v5                                       // 000000005CCC: 7E0A4105
	v_exp_f32_e32 v6, v6                                       // 000000005CD0: 7E0C4106
	v_exp_f32_e32 v7, v7                                       // 000000005CD4: 7E0E4107
	v_add_f32_e64 v4, v4, 1.0                                  // 000000005CD8: D1010004 0001E504
	v_add_f32_e64 v5, v5, 1.0                                  // 000000005CE0: D1010005 0001E505
	v_add_f32_e64 v6, v6, 1.0                                  // 000000005CE8: D1010006 0001E506
	v_add_f32_e64 v7, v7, 1.0                                  // 000000005CF0: D1010007 0001E507
	v_rcp_f32_e32 v4, v4                                       // 000000005CF8: 7E084504
	v_rcp_f32_e32 v5, v5                                       // 000000005CFC: 7E0A4505
	v_rcp_f32_e32 v6, v6                                       // 000000005D00: 7E0C4506
	v_rcp_f32_e32 v7, v7                                       // 000000005D04: 7E0E4507
	v_mul_f32_e32 v104, v104, v4                               // 000000005D08: 0AD00968
	v_mul_f32_e32 v105, v105, v5                               // 000000005D0C: 0AD20B69
	v_mul_f32_e32 v106, v106, v6                               // 000000005D10: 0AD40D6A
	v_mul_f32_e32 v107, v107, v7                               // 000000005D14: 0AD60F6B
	v_mul_f32_e32 v104, v104, v176                             // 000000005D18: 0AD16168
	v_mul_f32_e32 v105, v105, v177                             // 000000005D1C: 0AD36369
	v_mul_f32_e32 v106, v106, v178                             // 000000005D20: 0AD5656A
	v_mul_f32_e32 v107, v107, v179                             // 000000005D24: 0AD7676B
	v_mul_f32_e64 v4, -v108, s6                                // 000000005D28: D1050004 20000D6C
	v_mul_f32_e64 v5, -v109, s6                                // 000000005D30: D1050005 20000D6D
	v_mul_f32_e64 v6, -v110, s6                                // 000000005D38: D1050006 20000D6E
	v_mul_f32_e64 v7, -v111, s6                                // 000000005D40: D1050007 20000D6F
	v_exp_f32_e32 v4, v4                                       // 000000005D48: 7E084104
	v_exp_f32_e32 v5, v5                                       // 000000005D4C: 7E0A4105
	v_exp_f32_e32 v6, v6                                       // 000000005D50: 7E0C4106
	v_exp_f32_e32 v7, v7                                       // 000000005D54: 7E0E4107
	v_add_f32_e64 v4, v4, 1.0                                  // 000000005D58: D1010004 0001E504
	v_add_f32_e64 v5, v5, 1.0                                  // 000000005D60: D1010005 0001E505
	v_add_f32_e64 v6, v6, 1.0                                  // 000000005D68: D1010006 0001E506
	v_add_f32_e64 v7, v7, 1.0                                  // 000000005D70: D1010007 0001E507
	v_rcp_f32_e32 v4, v4                                       // 000000005D78: 7E084504
	v_rcp_f32_e32 v5, v5                                       // 000000005D7C: 7E0A4505
	v_rcp_f32_e32 v6, v6                                       // 000000005D80: 7E0C4506
	v_rcp_f32_e32 v7, v7                                       // 000000005D84: 7E0E4507
	v_mul_f32_e32 v108, v108, v4                               // 000000005D88: 0AD8096C
	v_mul_f32_e32 v109, v109, v5                               // 000000005D8C: 0ADA0B6D
	v_mul_f32_e32 v110, v110, v6                               // 000000005D90: 0ADC0D6E
	v_mul_f32_e32 v111, v111, v7                               // 000000005D94: 0ADE0F6F
	v_mul_f32_e32 v108, v108, v180                             // 000000005D98: 0AD9696C
	v_mul_f32_e32 v109, v109, v181                             // 000000005D9C: 0ADB6B6D
	v_mul_f32_e32 v110, v110, v182                             // 000000005DA0: 0ADD6D6E
	v_mul_f32_e32 v111, v111, v183                             // 000000005DA4: 0ADF6F6F
	v_mul_f32_e64 v4, -v112, s6                                // 000000005DA8: D1050004 20000D70
	v_mul_f32_e64 v5, -v113, s6                                // 000000005DB0: D1050005 20000D71
	v_mul_f32_e64 v6, -v114, s6                                // 000000005DB8: D1050006 20000D72
	v_mul_f32_e64 v7, -v115, s6                                // 000000005DC0: D1050007 20000D73
	v_exp_f32_e32 v4, v4                                       // 000000005DC8: 7E084104
	v_exp_f32_e32 v5, v5                                       // 000000005DCC: 7E0A4105
	v_exp_f32_e32 v6, v6                                       // 000000005DD0: 7E0C4106
	v_exp_f32_e32 v7, v7                                       // 000000005DD4: 7E0E4107
	v_add_f32_e64 v4, v4, 1.0                                  // 000000005DD8: D1010004 0001E504
	v_add_f32_e64 v5, v5, 1.0                                  // 000000005DE0: D1010005 0001E505
	v_add_f32_e64 v6, v6, 1.0                                  // 000000005DE8: D1010006 0001E506
	v_add_f32_e64 v7, v7, 1.0                                  // 000000005DF0: D1010007 0001E507
	v_rcp_f32_e32 v4, v4                                       // 000000005DF8: 7E084504
	v_rcp_f32_e32 v5, v5                                       // 000000005DFC: 7E0A4505
	v_rcp_f32_e32 v6, v6                                       // 000000005E00: 7E0C4506
	v_rcp_f32_e32 v7, v7                                       // 000000005E04: 7E0E4507
	v_mul_f32_e32 v112, v112, v4                               // 000000005E08: 0AE00970
	v_mul_f32_e32 v113, v113, v5                               // 000000005E0C: 0AE20B71
	v_mul_f32_e32 v114, v114, v6                               // 000000005E10: 0AE40D72
	v_mul_f32_e32 v115, v115, v7                               // 000000005E14: 0AE60F73
	v_mul_f32_e32 v112, v112, v184                             // 000000005E18: 0AE17170
	v_mul_f32_e32 v113, v113, v185                             // 000000005E1C: 0AE37371
	v_mul_f32_e32 v114, v114, v186                             // 000000005E20: 0AE57572
	v_mul_f32_e32 v115, v115, v187                             // 000000005E24: 0AE77773
	v_mul_f32_e64 v4, -v116, s6                                // 000000005E28: D1050004 20000D74
	v_mul_f32_e64 v5, -v117, s6                                // 000000005E30: D1050005 20000D75
	v_mul_f32_e64 v6, -v118, s6                                // 000000005E38: D1050006 20000D76
	v_mul_f32_e64 v7, -v119, s6                                // 000000005E40: D1050007 20000D77
	v_exp_f32_e32 v4, v4                                       // 000000005E48: 7E084104
	v_exp_f32_e32 v5, v5                                       // 000000005E4C: 7E0A4105
	v_exp_f32_e32 v6, v6                                       // 000000005E50: 7E0C4106
	v_exp_f32_e32 v7, v7                                       // 000000005E54: 7E0E4107
	v_add_f32_e64 v4, v4, 1.0                                  // 000000005E58: D1010004 0001E504
	v_add_f32_e64 v5, v5, 1.0                                  // 000000005E60: D1010005 0001E505
	v_add_f32_e64 v6, v6, 1.0                                  // 000000005E68: D1010006 0001E506
	v_add_f32_e64 v7, v7, 1.0                                  // 000000005E70: D1010007 0001E507
	v_rcp_f32_e32 v4, v4                                       // 000000005E78: 7E084504
	v_rcp_f32_e32 v5, v5                                       // 000000005E7C: 7E0A4505
	v_rcp_f32_e32 v6, v6                                       // 000000005E80: 7E0C4506
	v_rcp_f32_e32 v7, v7                                       // 000000005E84: 7E0E4507
	v_mul_f32_e32 v116, v116, v4                               // 000000005E88: 0AE80974
	v_mul_f32_e32 v117, v117, v5                               // 000000005E8C: 0AEA0B75
	v_mul_f32_e32 v118, v118, v6                               // 000000005E90: 0AEC0D76
	v_mul_f32_e32 v119, v119, v7                               // 000000005E94: 0AEE0F77
	v_mul_f32_e32 v116, v116, v188                             // 000000005E98: 0AE97974
	v_mul_f32_e32 v117, v117, v189                             // 000000005E9C: 0AEB7B75
	v_mul_f32_e32 v118, v118, v190                             // 000000005EA0: 0AED7D76
	v_mul_f32_e32 v119, v119, v191                             // 000000005EA4: 0AEF7F77
	v_mul_f32_e64 v4, -v120, s6                                // 000000005EA8: D1050004 20000D78
	v_mul_f32_e64 v5, -v121, s6                                // 000000005EB0: D1050005 20000D79
	v_mul_f32_e64 v6, -v122, s6                                // 000000005EB8: D1050006 20000D7A
	v_mul_f32_e64 v7, -v123, s6                                // 000000005EC0: D1050007 20000D7B
	v_exp_f32_e32 v4, v4                                       // 000000005EC8: 7E084104
	v_exp_f32_e32 v5, v5                                       // 000000005ECC: 7E0A4105
	v_exp_f32_e32 v6, v6                                       // 000000005ED0: 7E0C4106
	v_exp_f32_e32 v7, v7                                       // 000000005ED4: 7E0E4107
	v_add_f32_e64 v4, v4, 1.0                                  // 000000005ED8: D1010004 0001E504
	v_add_f32_e64 v5, v5, 1.0                                  // 000000005EE0: D1010005 0001E505
	v_add_f32_e64 v6, v6, 1.0                                  // 000000005EE8: D1010006 0001E506
	v_add_f32_e64 v7, v7, 1.0                                  // 000000005EF0: D1010007 0001E507
	v_rcp_f32_e32 v4, v4                                       // 000000005EF8: 7E084504
	v_rcp_f32_e32 v5, v5                                       // 000000005EFC: 7E0A4505
	v_rcp_f32_e32 v6, v6                                       // 000000005F00: 7E0C4506
	v_rcp_f32_e32 v7, v7                                       // 000000005F04: 7E0E4507
	v_mul_f32_e32 v120, v120, v4                               // 000000005F08: 0AF00978
	v_mul_f32_e32 v121, v121, v5                               // 000000005F0C: 0AF20B79
	v_mul_f32_e32 v122, v122, v6                               // 000000005F10: 0AF40D7A
	v_mul_f32_e32 v123, v123, v7                               // 000000005F14: 0AF60F7B
	v_mul_f32_e32 v120, v120, v192                             // 000000005F18: 0AF18178
	v_mul_f32_e32 v121, v121, v193                             // 000000005F1C: 0AF38379
	v_mul_f32_e32 v122, v122, v194                             // 000000005F20: 0AF5857A
	v_mul_f32_e32 v123, v123, v195                             // 000000005F24: 0AF7877B
	v_mul_f32_e64 v4, -v124, s6                                // 000000005F28: D1050004 20000D7C
	v_mul_f32_e64 v5, -v125, s6                                // 000000005F30: D1050005 20000D7D
	v_mul_f32_e64 v6, -v126, s6                                // 000000005F38: D1050006 20000D7E
	v_mul_f32_e64 v7, -v127, s6                                // 000000005F40: D1050007 20000D7F
	v_exp_f32_e32 v4, v4                                       // 000000005F48: 7E084104
	v_exp_f32_e32 v5, v5                                       // 000000005F4C: 7E0A4105
	v_exp_f32_e32 v6, v6                                       // 000000005F50: 7E0C4106
	v_exp_f32_e32 v7, v7                                       // 000000005F54: 7E0E4107
	v_add_f32_e64 v4, v4, 1.0                                  // 000000005F58: D1010004 0001E504
	v_add_f32_e64 v5, v5, 1.0                                  // 000000005F60: D1010005 0001E505
	v_add_f32_e64 v6, v6, 1.0                                  // 000000005F68: D1010006 0001E506
	v_add_f32_e64 v7, v7, 1.0                                  // 000000005F70: D1010007 0001E507
	v_rcp_f32_e32 v4, v4                                       // 000000005F78: 7E084504
	v_rcp_f32_e32 v5, v5                                       // 000000005F7C: 7E0A4505
	v_rcp_f32_e32 v6, v6                                       // 000000005F80: 7E0C4506
	v_rcp_f32_e32 v7, v7                                       // 000000005F84: 7E0E4507
	v_mul_f32_e32 v124, v124, v4                               // 000000005F88: 0AF8097C
	v_mul_f32_e32 v125, v125, v5                               // 000000005F8C: 0AFA0B7D
	v_mul_f32_e32 v126, v126, v6                               // 000000005F90: 0AFC0D7E
	v_mul_f32_e32 v127, v127, v7                               // 000000005F94: 0AFE0F7F
	v_mul_f32_e32 v124, v124, v196                             // 000000005F98: 0AF9897C
	v_mul_f32_e32 v125, v125, v197                             // 000000005F9C: 0AFB8B7D
	v_mul_f32_e32 v126, v126, v198                             // 000000005FA0: 0AFD8D7E
	v_mul_f32_e32 v127, v127, v199                             // 000000005FA4: 0AFF8F7F
	v_mul_f32_e64 v4, -v128, s6                                // 000000005FA8: D1050004 20000D80
	v_mul_f32_e64 v5, -v129, s6                                // 000000005FB0: D1050005 20000D81
	v_mul_f32_e64 v6, -v130, s6                                // 000000005FB8: D1050006 20000D82
	v_mul_f32_e64 v7, -v131, s6                                // 000000005FC0: D1050007 20000D83
	v_exp_f32_e32 v4, v4                                       // 000000005FC8: 7E084104
	v_exp_f32_e32 v5, v5                                       // 000000005FCC: 7E0A4105
	v_exp_f32_e32 v6, v6                                       // 000000005FD0: 7E0C4106
	v_exp_f32_e32 v7, v7                                       // 000000005FD4: 7E0E4107
	v_add_f32_e64 v4, v4, 1.0                                  // 000000005FD8: D1010004 0001E504
	v_add_f32_e64 v5, v5, 1.0                                  // 000000005FE0: D1010005 0001E505
	v_add_f32_e64 v6, v6, 1.0                                  // 000000005FE8: D1010006 0001E506
	v_add_f32_e64 v7, v7, 1.0                                  // 000000005FF0: D1010007 0001E507
	v_rcp_f32_e32 v4, v4                                       // 000000005FF8: 7E084504
	v_rcp_f32_e32 v5, v5                                       // 000000005FFC: 7E0A4505
	v_rcp_f32_e32 v6, v6                                       // 000000006000: 7E0C4506
	v_rcp_f32_e32 v7, v7                                       // 000000006004: 7E0E4507
	v_mul_f32_e32 v128, v128, v4                               // 000000006008: 0B000980
	v_mul_f32_e32 v129, v129, v5                               // 00000000600C: 0B020B81
	v_mul_f32_e32 v130, v130, v6                               // 000000006010: 0B040D82
	v_mul_f32_e32 v131, v131, v7                               // 000000006014: 0B060F83
	v_mul_f32_e32 v128, v128, v200                             // 000000006018: 0B019180
	v_mul_f32_e32 v129, v129, v201                             // 00000000601C: 0B039381
	v_mul_f32_e32 v130, v130, v202                             // 000000006020: 0B059582
	v_mul_f32_e32 v131, v131, v203                             // 000000006024: 0B079783
	v_mul_f32_e64 v4, -v132, s6                                // 000000006028: D1050004 20000D84
	v_mul_f32_e64 v5, -v133, s6                                // 000000006030: D1050005 20000D85
	v_mul_f32_e64 v6, -v134, s6                                // 000000006038: D1050006 20000D86
	v_mul_f32_e64 v7, -v135, s6                                // 000000006040: D1050007 20000D87
	v_exp_f32_e32 v4, v4                                       // 000000006048: 7E084104
	v_exp_f32_e32 v5, v5                                       // 00000000604C: 7E0A4105
	v_exp_f32_e32 v6, v6                                       // 000000006050: 7E0C4106
	v_exp_f32_e32 v7, v7                                       // 000000006054: 7E0E4107
	v_add_f32_e64 v4, v4, 1.0                                  // 000000006058: D1010004 0001E504
	v_add_f32_e64 v5, v5, 1.0                                  // 000000006060: D1010005 0001E505
	v_add_f32_e64 v6, v6, 1.0                                  // 000000006068: D1010006 0001E506
	v_add_f32_e64 v7, v7, 1.0                                  // 000000006070: D1010007 0001E507
	v_rcp_f32_e32 v4, v4                                       // 000000006078: 7E084504
	v_rcp_f32_e32 v5, v5                                       // 00000000607C: 7E0A4505
	v_rcp_f32_e32 v6, v6                                       // 000000006080: 7E0C4506
	v_rcp_f32_e32 v7, v7                                       // 000000006084: 7E0E4507
	v_mul_f32_e32 v132, v132, v4                               // 000000006088: 0B080984
	v_mul_f32_e32 v133, v133, v5                               // 00000000608C: 0B0A0B85
	v_mul_f32_e32 v134, v134, v6                               // 000000006090: 0B0C0D86
	v_mul_f32_e32 v135, v135, v7                               // 000000006094: 0B0E0F87
	v_mul_f32_e32 v132, v132, v204                             // 000000006098: 0B099984
	v_mul_f32_e32 v133, v133, v205                             // 00000000609C: 0B0B9B85
	v_mul_f32_e32 v134, v134, v206                             // 0000000060A0: 0B0D9D86
	v_mul_f32_e32 v135, v135, v207                             // 0000000060A4: 0B0F9F87
	v_mul_f32_e64 v4, -v136, s6                                // 0000000060A8: D1050004 20000D88
	v_mul_f32_e64 v5, -v137, s6                                // 0000000060B0: D1050005 20000D89
	v_mul_f32_e64 v6, -v138, s6                                // 0000000060B8: D1050006 20000D8A
	v_mul_f32_e64 v7, -v139, s6                                // 0000000060C0: D1050007 20000D8B
	v_exp_f32_e32 v4, v4                                       // 0000000060C8: 7E084104
	v_exp_f32_e32 v5, v5                                       // 0000000060CC: 7E0A4105
	v_exp_f32_e32 v6, v6                                       // 0000000060D0: 7E0C4106
	v_exp_f32_e32 v7, v7                                       // 0000000060D4: 7E0E4107
	v_add_f32_e64 v4, v4, 1.0                                  // 0000000060D8: D1010004 0001E504
	v_add_f32_e64 v5, v5, 1.0                                  // 0000000060E0: D1010005 0001E505
	v_add_f32_e64 v6, v6, 1.0                                  // 0000000060E8: D1010006 0001E506
	v_add_f32_e64 v7, v7, 1.0                                  // 0000000060F0: D1010007 0001E507
	v_rcp_f32_e32 v4, v4                                       // 0000000060F8: 7E084504
	v_rcp_f32_e32 v5, v5                                       // 0000000060FC: 7E0A4505
	v_rcp_f32_e32 v6, v6                                       // 000000006100: 7E0C4506
	v_rcp_f32_e32 v7, v7                                       // 000000006104: 7E0E4507
	v_mul_f32_e32 v136, v136, v4                               // 000000006108: 0B100988
	v_mul_f32_e32 v137, v137, v5                               // 00000000610C: 0B120B89
	v_mul_f32_e32 v138, v138, v6                               // 000000006110: 0B140D8A
	v_mul_f32_e32 v139, v139, v7                               // 000000006114: 0B160F8B
	v_mul_f32_e32 v136, v136, v208                             // 000000006118: 0B11A188
	v_mul_f32_e32 v137, v137, v209                             // 00000000611C: 0B13A389
	v_mul_f32_e32 v138, v138, v210                             // 000000006120: 0B15A58A
	v_mul_f32_e32 v139, v139, v211                             // 000000006124: 0B17A78B
	v_mul_f32_e64 v4, -v140, s6                                // 000000006128: D1050004 20000D8C
	v_mul_f32_e64 v5, -v141, s6                                // 000000006130: D1050005 20000D8D
	v_mul_f32_e64 v6, -v142, s6                                // 000000006138: D1050006 20000D8E
	v_mul_f32_e64 v7, -v143, s6                                // 000000006140: D1050007 20000D8F
	v_exp_f32_e32 v4, v4                                       // 000000006148: 7E084104
	v_exp_f32_e32 v5, v5                                       // 00000000614C: 7E0A4105
	v_exp_f32_e32 v6, v6                                       // 000000006150: 7E0C4106
	v_exp_f32_e32 v7, v7                                       // 000000006154: 7E0E4107
	v_add_f32_e64 v4, v4, 1.0                                  // 000000006158: D1010004 0001E504
	v_add_f32_e64 v5, v5, 1.0                                  // 000000006160: D1010005 0001E505
	v_add_f32_e64 v6, v6, 1.0                                  // 000000006168: D1010006 0001E506
	v_add_f32_e64 v7, v7, 1.0                                  // 000000006170: D1010007 0001E507
	v_rcp_f32_e32 v4, v4                                       // 000000006178: 7E084504
	v_rcp_f32_e32 v5, v5                                       // 00000000617C: 7E0A4505
	v_rcp_f32_e32 v6, v6                                       // 000000006180: 7E0C4506
	v_rcp_f32_e32 v7, v7                                       // 000000006184: 7E0E4507
	v_mul_f32_e32 v140, v140, v4                               // 000000006188: 0B18098C
	v_mul_f32_e32 v141, v141, v5                               // 00000000618C: 0B1A0B8D
	v_mul_f32_e32 v142, v142, v6                               // 000000006190: 0B1C0D8E
	v_mul_f32_e32 v143, v143, v7                               // 000000006194: 0B1E0F8F
	v_mul_f32_e32 v140, v140, v212                             // 000000006198: 0B19A98C
	v_mul_f32_e32 v141, v141, v213                             // 00000000619C: 0B1BAB8D
	v_mul_f32_e32 v142, v142, v214                             // 0000000061A0: 0B1DAD8E
	v_mul_f32_e32 v143, v143, v215                             // 0000000061A4: 0B1FAF8F
	v_mul_f32_e64 v4, -v144, s6                                // 0000000061A8: D1050004 20000D90
	v_mul_f32_e64 v5, -v145, s6                                // 0000000061B0: D1050005 20000D91
	v_mul_f32_e64 v6, -v146, s6                                // 0000000061B8: D1050006 20000D92
	v_mul_f32_e64 v7, -v147, s6                                // 0000000061C0: D1050007 20000D93
	v_exp_f32_e32 v4, v4                                       // 0000000061C8: 7E084104
	v_exp_f32_e32 v5, v5                                       // 0000000061CC: 7E0A4105
	v_exp_f32_e32 v6, v6                                       // 0000000061D0: 7E0C4106
	v_exp_f32_e32 v7, v7                                       // 0000000061D4: 7E0E4107
	v_add_f32_e64 v4, v4, 1.0                                  // 0000000061D8: D1010004 0001E504
	v_add_f32_e64 v5, v5, 1.0                                  // 0000000061E0: D1010005 0001E505
	v_add_f32_e64 v6, v6, 1.0                                  // 0000000061E8: D1010006 0001E506
	v_add_f32_e64 v7, v7, 1.0                                  // 0000000061F0: D1010007 0001E507
	v_rcp_f32_e32 v4, v4                                       // 0000000061F8: 7E084504
	v_rcp_f32_e32 v5, v5                                       // 0000000061FC: 7E0A4505
	v_rcp_f32_e32 v6, v6                                       // 000000006200: 7E0C4506
	v_rcp_f32_e32 v7, v7                                       // 000000006204: 7E0E4507
	v_mul_f32_e32 v144, v144, v4                               // 000000006208: 0B200990
	v_mul_f32_e32 v145, v145, v5                               // 00000000620C: 0B220B91
	v_mul_f32_e32 v146, v146, v6                               // 000000006210: 0B240D92
	v_mul_f32_e32 v147, v147, v7                               // 000000006214: 0B260F93
	v_mul_f32_e32 v144, v144, v216                             // 000000006218: 0B21B190
	v_mul_f32_e32 v145, v145, v217                             // 00000000621C: 0B23B391
	v_mul_f32_e32 v146, v146, v218                             // 000000006220: 0B25B592
	v_mul_f32_e32 v147, v147, v219                             // 000000006224: 0B27B793
	v_mul_f32_e64 v4, -v148, s6                                // 000000006228: D1050004 20000D94
	v_mul_f32_e64 v5, -v149, s6                                // 000000006230: D1050005 20000D95
	v_mul_f32_e64 v6, -v150, s6                                // 000000006238: D1050006 20000D96
	v_mul_f32_e64 v7, -v151, s6                                // 000000006240: D1050007 20000D97
	v_exp_f32_e32 v4, v4                                       // 000000006248: 7E084104
	v_exp_f32_e32 v5, v5                                       // 00000000624C: 7E0A4105
	v_exp_f32_e32 v6, v6                                       // 000000006250: 7E0C4106
	v_exp_f32_e32 v7, v7                                       // 000000006254: 7E0E4107
	v_add_f32_e64 v4, v4, 1.0                                  // 000000006258: D1010004 0001E504
	v_add_f32_e64 v5, v5, 1.0                                  // 000000006260: D1010005 0001E505
	v_add_f32_e64 v6, v6, 1.0                                  // 000000006268: D1010006 0001E506
	v_add_f32_e64 v7, v7, 1.0                                  // 000000006270: D1010007 0001E507
	v_rcp_f32_e32 v4, v4                                       // 000000006278: 7E084504
	v_rcp_f32_e32 v5, v5                                       // 00000000627C: 7E0A4505
	v_rcp_f32_e32 v6, v6                                       // 000000006280: 7E0C4506
	v_rcp_f32_e32 v7, v7                                       // 000000006284: 7E0E4507
	v_mul_f32_e32 v148, v148, v4                               // 000000006288: 0B280994
	v_mul_f32_e32 v149, v149, v5                               // 00000000628C: 0B2A0B95
	v_mul_f32_e32 v150, v150, v6                               // 000000006290: 0B2C0D96
	v_mul_f32_e32 v151, v151, v7                               // 000000006294: 0B2E0F97
	v_mul_f32_e32 v148, v148, v220                             // 000000006298: 0B29B994
	v_mul_f32_e32 v149, v149, v221                             // 00000000629C: 0B2BBB95
	v_mul_f32_e32 v150, v150, v222                             // 0000000062A0: 0B2DBD96
	v_mul_f32_e32 v151, v151, v223                             // 0000000062A4: 0B2FBF97
	v_mul_f32_e64 v4, -v152, s6                                // 0000000062A8: D1050004 20000D98
	v_mul_f32_e64 v5, -v153, s6                                // 0000000062B0: D1050005 20000D99
	v_mul_f32_e64 v6, -v154, s6                                // 0000000062B8: D1050006 20000D9A
	v_mul_f32_e64 v7, -v155, s6                                // 0000000062C0: D1050007 20000D9B
	v_exp_f32_e32 v4, v4                                       // 0000000062C8: 7E084104
	v_exp_f32_e32 v5, v5                                       // 0000000062CC: 7E0A4105
	v_exp_f32_e32 v6, v6                                       // 0000000062D0: 7E0C4106
	v_exp_f32_e32 v7, v7                                       // 0000000062D4: 7E0E4107
	v_add_f32_e64 v4, v4, 1.0                                  // 0000000062D8: D1010004 0001E504
	v_add_f32_e64 v5, v5, 1.0                                  // 0000000062E0: D1010005 0001E505
	v_add_f32_e64 v6, v6, 1.0                                  // 0000000062E8: D1010006 0001E506
	v_add_f32_e64 v7, v7, 1.0                                  // 0000000062F0: D1010007 0001E507
	v_rcp_f32_e32 v4, v4                                       // 0000000062F8: 7E084504
	v_rcp_f32_e32 v5, v5                                       // 0000000062FC: 7E0A4505
	v_rcp_f32_e32 v6, v6                                       // 000000006300: 7E0C4506
	v_rcp_f32_e32 v7, v7                                       // 000000006304: 7E0E4507
	v_mul_f32_e32 v152, v152, v4                               // 000000006308: 0B300998
	v_mul_f32_e32 v153, v153, v5                               // 00000000630C: 0B320B99
	v_mul_f32_e32 v154, v154, v6                               // 000000006310: 0B340D9A
	v_mul_f32_e32 v155, v155, v7                               // 000000006314: 0B360F9B
	v_mul_f32_e32 v152, v152, v224                             // 000000006318: 0B31C198
	v_mul_f32_e32 v153, v153, v225                             // 00000000631C: 0B33C399
	v_mul_f32_e32 v154, v154, v226                             // 000000006320: 0B35C59A
	v_mul_f32_e32 v155, v155, v227                             // 000000006324: 0B37C79B

0000000000006328 <label_0E4A>:
	v_cmp_u_f32_e64 s[46:47], v84, v84                         // 000000006328: D048002E 0002A954
	v_add3_u32 v16, v84, v19, 1                                // 000000006330: D1FF0010 02062754
	v_cndmask_b32_e64 v4, v16, v18, s[46:47]                   // 000000006338: D1000004 00BA2510
	v_cmp_u_f32_e64 s[46:47], v85, v85                         // 000000006340: D048002E 0002AB55
	v_add3_u32 v16, v85, v19, 1                                // 000000006348: D1FF0010 02062755
	v_cndmask_b32_e64 v5, v16, v18, s[46:47]                   // 000000006350: D1000005 00BA2510
	v_perm_b32 v84, v5, v4, s52                                // 000000006358: D1ED0054 00D20905
	v_cmp_u_f32_e64 s[46:47], v86, v86                         // 000000006360: D048002E 0002AD56
	v_add3_u32 v16, v86, v19, 1                                // 000000006368: D1FF0010 02062756
	v_cndmask_b32_e64 v4, v16, v18, s[46:47]                   // 000000006370: D1000004 00BA2510
	v_cmp_u_f32_e64 s[46:47], v87, v87                         // 000000006378: D048002E 0002AF57
	v_add3_u32 v16, v87, v19, 1                                // 000000006380: D1FF0010 02062757
	v_cndmask_b32_e64 v5, v16, v18, s[46:47]                   // 000000006388: D1000005 00BA2510
	v_perm_b32 v85, v5, v4, s52                                // 000000006390: D1ED0055 00D20905
	v_cmp_u_f32_e64 s[46:47], v88, v88                         // 000000006398: D048002E 0002B158
	v_add3_u32 v16, v88, v19, 1                                // 0000000063A0: D1FF0010 02062758
	v_cndmask_b32_e64 v4, v16, v18, s[46:47]                   // 0000000063A8: D1000004 00BA2510
	v_cmp_u_f32_e64 s[46:47], v89, v89                         // 0000000063B0: D048002E 0002B359
	v_add3_u32 v16, v89, v19, 1                                // 0000000063B8: D1FF0010 02062759
	v_cndmask_b32_e64 v5, v16, v18, s[46:47]                   // 0000000063C0: D1000005 00BA2510
	v_perm_b32 v86, v5, v4, s52                                // 0000000063C8: D1ED0056 00D20905
	v_cmp_u_f32_e64 s[46:47], v90, v90                         // 0000000063D0: D048002E 0002B55A
	v_add3_u32 v16, v90, v19, 1                                // 0000000063D8: D1FF0010 0206275A
	v_cndmask_b32_e64 v4, v16, v18, s[46:47]                   // 0000000063E0: D1000004 00BA2510
	v_cmp_u_f32_e64 s[46:47], v91, v91                         // 0000000063E8: D048002E 0002B75B
	v_add3_u32 v16, v91, v19, 1                                // 0000000063F0: D1FF0010 0206275B
	v_cndmask_b32_e64 v5, v16, v18, s[46:47]                   // 0000000063F8: D1000005 00BA2510
	v_perm_b32 v87, v5, v4, s52                                // 000000006400: D1ED0057 00D20905
	v_cmp_u_f32_e64 s[46:47], v92, v92                         // 000000006408: D048002E 0002B95C
	v_add3_u32 v16, v92, v19, 1                                // 000000006410: D1FF0010 0206275C
	v_cndmask_b32_e64 v4, v16, v18, s[46:47]                   // 000000006418: D1000004 00BA2510
	v_cmp_u_f32_e64 s[46:47], v93, v93                         // 000000006420: D048002E 0002BB5D
	v_add3_u32 v16, v93, v19, 1                                // 000000006428: D1FF0010 0206275D
	v_cndmask_b32_e64 v5, v16, v18, s[46:47]                   // 000000006430: D1000005 00BA2510
	v_perm_b32 v88, v5, v4, s52                                // 000000006438: D1ED0058 00D20905
	v_cmp_u_f32_e64 s[46:47], v94, v94                         // 000000006440: D048002E 0002BD5E
	v_add3_u32 v16, v94, v19, 1                                // 000000006448: D1FF0010 0206275E
	v_cndmask_b32_e64 v4, v16, v18, s[46:47]                   // 000000006450: D1000004 00BA2510
	v_cmp_u_f32_e64 s[46:47], v95, v95                         // 000000006458: D048002E 0002BF5F
	v_add3_u32 v16, v95, v19, 1                                // 000000006460: D1FF0010 0206275F
	v_cndmask_b32_e64 v5, v16, v18, s[46:47]                   // 000000006468: D1000005 00BA2510
	v_perm_b32 v89, v5, v4, s52                                // 000000006470: D1ED0059 00D20905
	v_cmp_u_f32_e64 s[46:47], v96, v96                         // 000000006478: D048002E 0002C160
	v_add3_u32 v16, v96, v19, 1                                // 000000006480: D1FF0010 02062760
	v_cndmask_b32_e64 v4, v16, v18, s[46:47]                   // 000000006488: D1000004 00BA2510
	v_cmp_u_f32_e64 s[46:47], v97, v97                         // 000000006490: D048002E 0002C361
	v_add3_u32 v16, v97, v19, 1                                // 000000006498: D1FF0010 02062761
	v_cndmask_b32_e64 v5, v16, v18, s[46:47]                   // 0000000064A0: D1000005 00BA2510
	v_perm_b32 v90, v5, v4, s52                                // 0000000064A8: D1ED005A 00D20905
	v_cmp_u_f32_e64 s[46:47], v98, v98                         // 0000000064B0: D048002E 0002C562
	v_add3_u32 v16, v98, v19, 1                                // 0000000064B8: D1FF0010 02062762
	v_cndmask_b32_e64 v4, v16, v18, s[46:47]                   // 0000000064C0: D1000004 00BA2510
	v_cmp_u_f32_e64 s[46:47], v99, v99                         // 0000000064C8: D048002E 0002C763
	v_add3_u32 v16, v99, v19, 1                                // 0000000064D0: D1FF0010 02062763
	v_cndmask_b32_e64 v5, v16, v18, s[46:47]                   // 0000000064D8: D1000005 00BA2510
	v_perm_b32 v91, v5, v4, s52                                // 0000000064E0: D1ED005B 00D20905
	v_cmp_u_f32_e64 s[46:47], v100, v100                       // 0000000064E8: D048002E 0002C964
	v_add3_u32 v16, v100, v19, 1                               // 0000000064F0: D1FF0010 02062764
	v_cndmask_b32_e64 v4, v16, v18, s[46:47]                   // 0000000064F8: D1000004 00BA2510
	v_cmp_u_f32_e64 s[46:47], v101, v101                       // 000000006500: D048002E 0002CB65
	v_add3_u32 v16, v101, v19, 1                               // 000000006508: D1FF0010 02062765
	v_cndmask_b32_e64 v5, v16, v18, s[46:47]                   // 000000006510: D1000005 00BA2510
	v_perm_b32 v92, v5, v4, s52                                // 000000006518: D1ED005C 00D20905
	v_cmp_u_f32_e64 s[46:47], v102, v102                       // 000000006520: D048002E 0002CD66
	v_add3_u32 v16, v102, v19, 1                               // 000000006528: D1FF0010 02062766
	v_cndmask_b32_e64 v4, v16, v18, s[46:47]                   // 000000006530: D1000004 00BA2510
	v_cmp_u_f32_e64 s[46:47], v103, v103                       // 000000006538: D048002E 0002CF67
	v_add3_u32 v16, v103, v19, 1                               // 000000006540: D1FF0010 02062767
	v_cndmask_b32_e64 v5, v16, v18, s[46:47]                   // 000000006548: D1000005 00BA2510
	v_perm_b32 v93, v5, v4, s52                                // 000000006550: D1ED005D 00D20905
	v_cmp_u_f32_e64 s[46:47], v104, v104                       // 000000006558: D048002E 0002D168
	v_add3_u32 v16, v104, v19, 1                               // 000000006560: D1FF0010 02062768
	v_cndmask_b32_e64 v4, v16, v18, s[46:47]                   // 000000006568: D1000004 00BA2510
	v_cmp_u_f32_e64 s[46:47], v105, v105                       // 000000006570: D048002E 0002D369
	v_add3_u32 v16, v105, v19, 1                               // 000000006578: D1FF0010 02062769
	v_cndmask_b32_e64 v5, v16, v18, s[46:47]                   // 000000006580: D1000005 00BA2510
	v_perm_b32 v94, v5, v4, s52                                // 000000006588: D1ED005E 00D20905
	v_cmp_u_f32_e64 s[46:47], v106, v106                       // 000000006590: D048002E 0002D56A
	v_add3_u32 v16, v106, v19, 1                               // 000000006598: D1FF0010 0206276A
	v_cndmask_b32_e64 v4, v16, v18, s[46:47]                   // 0000000065A0: D1000004 00BA2510
	v_cmp_u_f32_e64 s[46:47], v107, v107                       // 0000000065A8: D048002E 0002D76B
	v_add3_u32 v16, v107, v19, 1                               // 0000000065B0: D1FF0010 0206276B
	v_cndmask_b32_e64 v5, v16, v18, s[46:47]                   // 0000000065B8: D1000005 00BA2510
	v_perm_b32 v95, v5, v4, s52                                // 0000000065C0: D1ED005F 00D20905
	v_cmp_u_f32_e64 s[46:47], v108, v108                       // 0000000065C8: D048002E 0002D96C
	v_add3_u32 v16, v108, v19, 1                               // 0000000065D0: D1FF0010 0206276C
	v_cndmask_b32_e64 v4, v16, v18, s[46:47]                   // 0000000065D8: D1000004 00BA2510
	v_cmp_u_f32_e64 s[46:47], v109, v109                       // 0000000065E0: D048002E 0002DB6D
	v_add3_u32 v16, v109, v19, 1                               // 0000000065E8: D1FF0010 0206276D
	v_cndmask_b32_e64 v5, v16, v18, s[46:47]                   // 0000000065F0: D1000005 00BA2510
	v_perm_b32 v96, v5, v4, s52                                // 0000000065F8: D1ED0060 00D20905
	v_cmp_u_f32_e64 s[46:47], v110, v110                       // 000000006600: D048002E 0002DD6E
	v_add3_u32 v16, v110, v19, 1                               // 000000006608: D1FF0010 0206276E
	v_cndmask_b32_e64 v4, v16, v18, s[46:47]                   // 000000006610: D1000004 00BA2510
	v_cmp_u_f32_e64 s[46:47], v111, v111                       // 000000006618: D048002E 0002DF6F
	v_add3_u32 v16, v111, v19, 1                               // 000000006620: D1FF0010 0206276F
	v_cndmask_b32_e64 v5, v16, v18, s[46:47]                   // 000000006628: D1000005 00BA2510
	v_perm_b32 v97, v5, v4, s52                                // 000000006630: D1ED0061 00D20905
	v_cmp_u_f32_e64 s[46:47], v112, v112                       // 000000006638: D048002E 0002E170
	v_add3_u32 v16, v112, v19, 1                               // 000000006640: D1FF0010 02062770
	v_cndmask_b32_e64 v4, v16, v18, s[46:47]                   // 000000006648: D1000004 00BA2510
	v_cmp_u_f32_e64 s[46:47], v113, v113                       // 000000006650: D048002E 0002E371
	v_add3_u32 v16, v113, v19, 1                               // 000000006658: D1FF0010 02062771
	v_cndmask_b32_e64 v5, v16, v18, s[46:47]                   // 000000006660: D1000005 00BA2510
	v_perm_b32 v98, v5, v4, s52                                // 000000006668: D1ED0062 00D20905
	v_cmp_u_f32_e64 s[46:47], v114, v114                       // 000000006670: D048002E 0002E572
	v_add3_u32 v16, v114, v19, 1                               // 000000006678: D1FF0010 02062772
	v_cndmask_b32_e64 v4, v16, v18, s[46:47]                   // 000000006680: D1000004 00BA2510
	v_cmp_u_f32_e64 s[46:47], v115, v115                       // 000000006688: D048002E 0002E773
	v_add3_u32 v16, v115, v19, 1                               // 000000006690: D1FF0010 02062773
	v_cndmask_b32_e64 v5, v16, v18, s[46:47]                   // 000000006698: D1000005 00BA2510
	v_perm_b32 v99, v5, v4, s52                                // 0000000066A0: D1ED0063 00D20905
	v_cmp_u_f32_e64 s[46:47], v116, v116                       // 0000000066A8: D048002E 0002E974
	v_add3_u32 v16, v116, v19, 1                               // 0000000066B0: D1FF0010 02062774
	v_cndmask_b32_e64 v4, v16, v18, s[46:47]                   // 0000000066B8: D1000004 00BA2510
	v_cmp_u_f32_e64 s[46:47], v117, v117                       // 0000000066C0: D048002E 0002EB75
	v_add3_u32 v16, v117, v19, 1                               // 0000000066C8: D1FF0010 02062775
	v_cndmask_b32_e64 v5, v16, v18, s[46:47]                   // 0000000066D0: D1000005 00BA2510
	v_perm_b32 v100, v5, v4, s52                               // 0000000066D8: D1ED0064 00D20905
	v_cmp_u_f32_e64 s[46:47], v118, v118                       // 0000000066E0: D048002E 0002ED76
	v_add3_u32 v16, v118, v19, 1                               // 0000000066E8: D1FF0010 02062776
	v_cndmask_b32_e64 v4, v16, v18, s[46:47]                   // 0000000066F0: D1000004 00BA2510
	v_cmp_u_f32_e64 s[46:47], v119, v119                       // 0000000066F8: D048002E 0002EF77
	v_add3_u32 v16, v119, v19, 1                               // 000000006700: D1FF0010 02062777
	v_cndmask_b32_e64 v5, v16, v18, s[46:47]                   // 000000006708: D1000005 00BA2510
	v_perm_b32 v101, v5, v4, s52                               // 000000006710: D1ED0065 00D20905
	v_cmp_u_f32_e64 s[46:47], v120, v120                       // 000000006718: D048002E 0002F178
	v_add3_u32 v16, v120, v19, 1                               // 000000006720: D1FF0010 02062778
	v_cndmask_b32_e64 v4, v16, v18, s[46:47]                   // 000000006728: D1000004 00BA2510
	v_cmp_u_f32_e64 s[46:47], v121, v121                       // 000000006730: D048002E 0002F379
	v_add3_u32 v16, v121, v19, 1                               // 000000006738: D1FF0010 02062779
	v_cndmask_b32_e64 v5, v16, v18, s[46:47]                   // 000000006740: D1000005 00BA2510
	v_perm_b32 v102, v5, v4, s52                               // 000000006748: D1ED0066 00D20905
	v_cmp_u_f32_e64 s[46:47], v122, v122                       // 000000006750: D048002E 0002F57A
	v_add3_u32 v16, v122, v19, 1                               // 000000006758: D1FF0010 0206277A
	v_cndmask_b32_e64 v4, v16, v18, s[46:47]                   // 000000006760: D1000004 00BA2510
	v_cmp_u_f32_e64 s[46:47], v123, v123                       // 000000006768: D048002E 0002F77B
	v_add3_u32 v16, v123, v19, 1                               // 000000006770: D1FF0010 0206277B
	v_cndmask_b32_e64 v5, v16, v18, s[46:47]                   // 000000006778: D1000005 00BA2510
	v_perm_b32 v103, v5, v4, s52                               // 000000006780: D1ED0067 00D20905
	v_cmp_u_f32_e64 s[46:47], v124, v124                       // 000000006788: D048002E 0002F97C
	v_add3_u32 v16, v124, v19, 1                               // 000000006790: D1FF0010 0206277C
	v_cndmask_b32_e64 v4, v16, v18, s[46:47]                   // 000000006798: D1000004 00BA2510
	v_cmp_u_f32_e64 s[46:47], v125, v125                       // 0000000067A0: D048002E 0002FB7D
	v_add3_u32 v16, v125, v19, 1                               // 0000000067A8: D1FF0010 0206277D
	v_cndmask_b32_e64 v5, v16, v18, s[46:47]                   // 0000000067B0: D1000005 00BA2510
	v_perm_b32 v104, v5, v4, s52                               // 0000000067B8: D1ED0068 00D20905
	v_cmp_u_f32_e64 s[46:47], v126, v126                       // 0000000067C0: D048002E 0002FD7E
	v_add3_u32 v16, v126, v19, 1                               // 0000000067C8: D1FF0010 0206277E
	v_cndmask_b32_e64 v4, v16, v18, s[46:47]                   // 0000000067D0: D1000004 00BA2510
	v_cmp_u_f32_e64 s[46:47], v127, v127                       // 0000000067D8: D048002E 0002FF7F
	v_add3_u32 v16, v127, v19, 1                               // 0000000067E0: D1FF0010 0206277F
	v_cndmask_b32_e64 v5, v16, v18, s[46:47]                   // 0000000067E8: D1000005 00BA2510
	v_perm_b32 v105, v5, v4, s52                               // 0000000067F0: D1ED0069 00D20905
	v_cmp_u_f32_e64 s[46:47], v128, v128                       // 0000000067F8: D048002E 00030180
	v_add3_u32 v16, v128, v19, 1                               // 000000006800: D1FF0010 02062780
	v_cndmask_b32_e64 v4, v16, v18, s[46:47]                   // 000000006808: D1000004 00BA2510
	v_cmp_u_f32_e64 s[46:47], v129, v129                       // 000000006810: D048002E 00030381
	v_add3_u32 v16, v129, v19, 1                               // 000000006818: D1FF0010 02062781
	v_cndmask_b32_e64 v5, v16, v18, s[46:47]                   // 000000006820: D1000005 00BA2510
	v_perm_b32 v106, v5, v4, s52                               // 000000006828: D1ED006A 00D20905
	v_cmp_u_f32_e64 s[46:47], v130, v130                       // 000000006830: D048002E 00030582
	v_add3_u32 v16, v130, v19, 1                               // 000000006838: D1FF0010 02062782
	v_cndmask_b32_e64 v4, v16, v18, s[46:47]                   // 000000006840: D1000004 00BA2510
	v_cmp_u_f32_e64 s[46:47], v131, v131                       // 000000006848: D048002E 00030783
	v_add3_u32 v16, v131, v19, 1                               // 000000006850: D1FF0010 02062783
	v_cndmask_b32_e64 v5, v16, v18, s[46:47]                   // 000000006858: D1000005 00BA2510
	v_perm_b32 v107, v5, v4, s52                               // 000000006860: D1ED006B 00D20905
	v_cmp_u_f32_e64 s[46:47], v132, v132                       // 000000006868: D048002E 00030984
	v_add3_u32 v16, v132, v19, 1                               // 000000006870: D1FF0010 02062784
	v_cndmask_b32_e64 v4, v16, v18, s[46:47]                   // 000000006878: D1000004 00BA2510
	v_cmp_u_f32_e64 s[46:47], v133, v133                       // 000000006880: D048002E 00030B85
	v_add3_u32 v16, v133, v19, 1                               // 000000006888: D1FF0010 02062785
	v_cndmask_b32_e64 v5, v16, v18, s[46:47]                   // 000000006890: D1000005 00BA2510
	v_perm_b32 v108, v5, v4, s52                               // 000000006898: D1ED006C 00D20905
	v_cmp_u_f32_e64 s[46:47], v134, v134                       // 0000000068A0: D048002E 00030D86
	v_add3_u32 v16, v134, v19, 1                               // 0000000068A8: D1FF0010 02062786
	v_cndmask_b32_e64 v4, v16, v18, s[46:47]                   // 0000000068B0: D1000004 00BA2510
	v_cmp_u_f32_e64 s[46:47], v135, v135                       // 0000000068B8: D048002E 00030F87
	v_add3_u32 v16, v135, v19, 1                               // 0000000068C0: D1FF0010 02062787
	v_cndmask_b32_e64 v5, v16, v18, s[46:47]                   // 0000000068C8: D1000005 00BA2510
	v_perm_b32 v109, v5, v4, s52                               // 0000000068D0: D1ED006D 00D20905
	v_cmp_u_f32_e64 s[46:47], v136, v136                       // 0000000068D8: D048002E 00031188
	v_add3_u32 v16, v136, v19, 1                               // 0000000068E0: D1FF0010 02062788
	v_cndmask_b32_e64 v4, v16, v18, s[46:47]                   // 0000000068E8: D1000004 00BA2510
	v_cmp_u_f32_e64 s[46:47], v137, v137                       // 0000000068F0: D048002E 00031389
	v_add3_u32 v16, v137, v19, 1                               // 0000000068F8: D1FF0010 02062789
	v_cndmask_b32_e64 v5, v16, v18, s[46:47]                   // 000000006900: D1000005 00BA2510
	v_perm_b32 v110, v5, v4, s52                               // 000000006908: D1ED006E 00D20905
	v_cmp_u_f32_e64 s[46:47], v138, v138                       // 000000006910: D048002E 0003158A
	v_add3_u32 v16, v138, v19, 1                               // 000000006918: D1FF0010 0206278A
	v_cndmask_b32_e64 v4, v16, v18, s[46:47]                   // 000000006920: D1000004 00BA2510
	v_cmp_u_f32_e64 s[46:47], v139, v139                       // 000000006928: D048002E 0003178B
	v_add3_u32 v16, v139, v19, 1                               // 000000006930: D1FF0010 0206278B
	v_cndmask_b32_e64 v5, v16, v18, s[46:47]                   // 000000006938: D1000005 00BA2510
	v_perm_b32 v111, v5, v4, s52                               // 000000006940: D1ED006F 00D20905
	v_cmp_u_f32_e64 s[46:47], v140, v140                       // 000000006948: D048002E 0003198C
	v_add3_u32 v16, v140, v19, 1                               // 000000006950: D1FF0010 0206278C
	v_cndmask_b32_e64 v4, v16, v18, s[46:47]                   // 000000006958: D1000004 00BA2510
	v_cmp_u_f32_e64 s[46:47], v141, v141                       // 000000006960: D048002E 00031B8D
	v_add3_u32 v16, v141, v19, 1                               // 000000006968: D1FF0010 0206278D
	v_cndmask_b32_e64 v5, v16, v18, s[46:47]                   // 000000006970: D1000005 00BA2510
	v_perm_b32 v112, v5, v4, s52                               // 000000006978: D1ED0070 00D20905
	v_cmp_u_f32_e64 s[46:47], v142, v142                       // 000000006980: D048002E 00031D8E
	v_add3_u32 v16, v142, v19, 1                               // 000000006988: D1FF0010 0206278E
	v_cndmask_b32_e64 v4, v16, v18, s[46:47]                   // 000000006990: D1000004 00BA2510
	v_cmp_u_f32_e64 s[46:47], v143, v143                       // 000000006998: D048002E 00031F8F
	v_add3_u32 v16, v143, v19, 1                               // 0000000069A0: D1FF0010 0206278F
	v_cndmask_b32_e64 v5, v16, v18, s[46:47]                   // 0000000069A8: D1000005 00BA2510
	v_perm_b32 v113, v5, v4, s52                               // 0000000069B0: D1ED0071 00D20905
	v_cmp_u_f32_e64 s[46:47], v144, v144                       // 0000000069B8: D048002E 00032190
	v_add3_u32 v16, v144, v19, 1                               // 0000000069C0: D1FF0010 02062790
	v_cndmask_b32_e64 v4, v16, v18, s[46:47]                   // 0000000069C8: D1000004 00BA2510
	v_cmp_u_f32_e64 s[46:47], v145, v145                       // 0000000069D0: D048002E 00032391
	v_add3_u32 v16, v145, v19, 1                               // 0000000069D8: D1FF0010 02062791
	v_cndmask_b32_e64 v5, v16, v18, s[46:47]                   // 0000000069E0: D1000005 00BA2510
	v_perm_b32 v114, v5, v4, s52                               // 0000000069E8: D1ED0072 00D20905
	v_cmp_u_f32_e64 s[46:47], v146, v146                       // 0000000069F0: D048002E 00032592
	v_add3_u32 v16, v146, v19, 1                               // 0000000069F8: D1FF0010 02062792
	v_cndmask_b32_e64 v4, v16, v18, s[46:47]                   // 000000006A00: D1000004 00BA2510
	v_cmp_u_f32_e64 s[46:47], v147, v147                       // 000000006A08: D048002E 00032793
	v_add3_u32 v16, v147, v19, 1                               // 000000006A10: D1FF0010 02062793
	v_cndmask_b32_e64 v5, v16, v18, s[46:47]                   // 000000006A18: D1000005 00BA2510
	v_perm_b32 v115, v5, v4, s52                               // 000000006A20: D1ED0073 00D20905
	v_cmp_u_f32_e64 s[46:47], v148, v148                       // 000000006A28: D048002E 00032994
	v_add3_u32 v16, v148, v19, 1                               // 000000006A30: D1FF0010 02062794
	v_cndmask_b32_e64 v4, v16, v18, s[46:47]                   // 000000006A38: D1000004 00BA2510
	v_cmp_u_f32_e64 s[46:47], v149, v149                       // 000000006A40: D048002E 00032B95
	v_add3_u32 v16, v149, v19, 1                               // 000000006A48: D1FF0010 02062795
	v_cndmask_b32_e64 v5, v16, v18, s[46:47]                   // 000000006A50: D1000005 00BA2510
	v_perm_b32 v116, v5, v4, s52                               // 000000006A58: D1ED0074 00D20905
	v_cmp_u_f32_e64 s[46:47], v150, v150                       // 000000006A60: D048002E 00032D96
	v_add3_u32 v16, v150, v19, 1                               // 000000006A68: D1FF0010 02062796
	v_cndmask_b32_e64 v4, v16, v18, s[46:47]                   // 000000006A70: D1000004 00BA2510
	v_cmp_u_f32_e64 s[46:47], v151, v151                       // 000000006A78: D048002E 00032F97
	v_add3_u32 v16, v151, v19, 1                               // 000000006A80: D1FF0010 02062797
	v_cndmask_b32_e64 v5, v16, v18, s[46:47]                   // 000000006A88: D1000005 00BA2510
	v_perm_b32 v117, v5, v4, s52                               // 000000006A90: D1ED0075 00D20905
	v_cmp_u_f32_e64 s[46:47], v152, v152                       // 000000006A98: D048002E 00033198
	v_add3_u32 v16, v152, v19, 1                               // 000000006AA0: D1FF0010 02062798
	v_cndmask_b32_e64 v4, v16, v18, s[46:47]                   // 000000006AA8: D1000004 00BA2510
	v_cmp_u_f32_e64 s[46:47], v153, v153                       // 000000006AB0: D048002E 00033399
	v_add3_u32 v16, v153, v19, 1                               // 000000006AB8: D1FF0010 02062799
	v_cndmask_b32_e64 v5, v16, v18, s[46:47]                   // 000000006AC0: D1000005 00BA2510
	v_perm_b32 v118, v5, v4, s52                               // 000000006AC8: D1ED0076 00D20905
	v_cmp_u_f32_e64 s[46:47], v154, v154                       // 000000006AD0: D048002E 0003359A
	v_add3_u32 v16, v154, v19, 1                               // 000000006AD8: D1FF0010 0206279A
	v_cndmask_b32_e64 v4, v16, v18, s[46:47]                   // 000000006AE0: D1000004 00BA2510
	v_cmp_u_f32_e64 s[46:47], v155, v155                       // 000000006AE8: D048002E 0003379B
	v_add3_u32 v16, v155, v19, 1                               // 000000006AF0: D1FF0010 0206279B
	v_cndmask_b32_e64 v5, v16, v18, s[46:47]                   // 000000006AF8: D1000005 00BA2510
	v_perm_b32 v119, v5, v4, s52                               // 000000006B00: D1ED0077 00D20905
	ds_write_b64 v20, v[84:85]                                 // 000000006B08: D89A0000 00005414
	ds_write_b64 v20, v[86:87] offset:4352                     // 000000006B10: D89A1100 00005614
	ds_write_b64 v20, v[88:89] offset:8704                     // 000000006B18: D89A2200 00005814
	ds_write_b64 v20, v[90:91] offset:13056                    // 000000006B20: D89A3300 00005A14
	ds_write_b64 v20, v[92:93] offset:17408                    // 000000006B28: D89A4400 00005C14
	ds_write_b64 v20, v[94:95] offset:21760                    // 000000006B30: D89A5500 00005E14
	ds_write_b64 v20, v[96:97] offset:26112                    // 000000006B38: D89A6600 00006014
	ds_write_b64 v20, v[98:99] offset:30464                    // 000000006B40: D89A7700 00006214
	ds_write_b64 v20, v[100:101] offset:34816                  // 000000006B48: D89A8800 00006414
	ds_write_b64 v20, v[102:103] offset:2176                   // 000000006B50: D89A0880 00006614
	ds_write_b64 v20, v[104:105] offset:6528                   // 000000006B58: D89A1980 00006814
	ds_write_b64 v20, v[106:107] offset:10880                  // 000000006B60: D89A2A80 00006A14
	ds_write_b64 v20, v[108:109] offset:15232                  // 000000006B68: D89A3B80 00006C14
	ds_write_b64 v20, v[110:111] offset:19584                  // 000000006B70: D89A4C80 00006E14
	ds_write_b64 v20, v[112:113] offset:23936                  // 000000006B78: D89A5D80 00007014
	ds_write_b64 v20, v[114:115] offset:28288                  // 000000006B80: D89A6E80 00007214
	ds_write_b64 v20, v[116:117] offset:32640                  // 000000006B88: D89A7F80 00007414
	ds_write_b64 v20, v[118:119] offset:36992                  // 000000006B90: D89A9080 00007614
	v_lshrrev_b32_e32 v4, 5, v0                                // 000000006B98: 20080085
	v_xor_b32_e32 v5, 1, v4                                    // 000000006B9C: 2A0A0881
	s_mul_i32 s60, s65, 2                                      // 000000006BA0: 923C8241
	s_cmp_eq_u32 s88, 0                                        // 000000006BA4: BF068058
	s_cselect_b32 s61, 1, 4                                    // 000000006BA8: 853D8481
	s_mul_i32 s60, s61, s60                                    // 000000006BAC: 923C3C3D
	v_readlane_b32 s82, v3, 0                                  // 000000006BB0: D2890052 00010103
	s_lshr_b32 s61, s82, 24                                    // 000000006BB8: 8F3D9852
	s_and_b32 s82, s82, 0xffffff                               // 000000006BBC: 8652FF52 00FFFFFF
	s_mul_i32 s82, s82, s71                                    // 000000006BC4: 92524752
	s_mul_i32 s61, s60, s61                                    // 000000006BC8: 923D3D3C
	s_add_u32 s82, s82, s61                                    // 000000006BCC: 80523D52
	v_mul_lo_u32 v6, v5, s82                                   // 000000006BD0: D2850006 0000A505
	v_readlane_b32 s82, v3, 1                                  // 000000006BD8: D2890052 00010303
	s_lshr_b32 s61, s82, 24                                    // 000000006BE0: 8F3D9852
	s_and_b32 s82, s82, 0xffffff                               // 000000006BE4: 8652FF52 00FFFFFF
	s_mul_i32 s82, s82, s71                                    // 000000006BEC: 92524752
	s_mul_i32 s61, s60, s61                                    // 000000006BF0: 923D3D3C
	s_add_u32 s82, s82, s61                                    // 000000006BF4: 80523D52
	v_mul_lo_u32 v7, v4, s82                                   // 000000006BF8: D2850007 0000A504
	v_add_u32_e32 v64, v6, v7                                  // 000000006C00: 68800F06
	v_readlane_b32 s82, v3, 2                                  // 000000006C04: D2890052 00010503
	s_lshr_b32 s61, s82, 24                                    // 000000006C0C: 8F3D9852
	s_and_b32 s82, s82, 0xffffff                               // 000000006C10: 8652FF52 00FFFFFF
	s_mul_i32 s82, s82, s71                                    // 000000006C18: 92524752
	s_mul_i32 s61, s60, s61                                    // 000000006C1C: 923D3D3C
	s_add_u32 s82, s82, s61                                    // 000000006C20: 80523D52
	v_mul_lo_u32 v6, v5, s82                                   // 000000006C24: D2850006 0000A505
	v_readlane_b32 s82, v3, 3                                  // 000000006C2C: D2890052 00010703
	s_lshr_b32 s61, s82, 24                                    // 000000006C34: 8F3D9852
	s_and_b32 s82, s82, 0xffffff                               // 000000006C38: 8652FF52 00FFFFFF
	s_mul_i32 s82, s82, s71                                    // 000000006C40: 92524752
	s_mul_i32 s61, s60, s61                                    // 000000006C44: 923D3D3C
	s_add_u32 s82, s82, s61                                    // 000000006C48: 80523D52
	v_mul_lo_u32 v7, v4, s82                                   // 000000006C4C: D2850007 0000A504
	v_add_u32_e32 v65, v6, v7                                  // 000000006C54: 68820F06
	v_readlane_b32 s82, v3, 4                                  // 000000006C58: D2890052 00010903
	s_lshr_b32 s61, s82, 24                                    // 000000006C60: 8F3D9852
	s_and_b32 s82, s82, 0xffffff                               // 000000006C64: 8652FF52 00FFFFFF
	s_mul_i32 s82, s82, s71                                    // 000000006C6C: 92524752
	s_mul_i32 s61, s60, s61                                    // 000000006C70: 923D3D3C
	s_add_u32 s82, s82, s61                                    // 000000006C74: 80523D52
	v_mul_lo_u32 v6, v5, s82                                   // 000000006C78: D2850006 0000A505
	v_readlane_b32 s82, v3, 5                                  // 000000006C80: D2890052 00010B03
	s_lshr_b32 s61, s82, 24                                    // 000000006C88: 8F3D9852
	s_and_b32 s82, s82, 0xffffff                               // 000000006C8C: 8652FF52 00FFFFFF
	s_mul_i32 s82, s82, s71                                    // 000000006C94: 92524752
	s_mul_i32 s61, s60, s61                                    // 000000006C98: 923D3D3C
	s_add_u32 s82, s82, s61                                    // 000000006C9C: 80523D52
	v_mul_lo_u32 v7, v4, s82                                   // 000000006CA0: D2850007 0000A504
	v_add_u32_e32 v66, v6, v7                                  // 000000006CA8: 68840F06
	v_readlane_b32 s82, v3, 6                                  // 000000006CAC: D2890052 00010D03
	s_lshr_b32 s61, s82, 24                                    // 000000006CB4: 8F3D9852
	s_and_b32 s82, s82, 0xffffff                               // 000000006CB8: 8652FF52 00FFFFFF
	s_mul_i32 s82, s82, s71                                    // 000000006CC0: 92524752
	s_mul_i32 s61, s60, s61                                    // 000000006CC4: 923D3D3C
	s_add_u32 s82, s82, s61                                    // 000000006CC8: 80523D52
	v_mul_lo_u32 v6, v5, s82                                   // 000000006CCC: D2850006 0000A505
	v_readlane_b32 s82, v3, 7                                  // 000000006CD4: D2890052 00010F03
	s_lshr_b32 s61, s82, 24                                    // 000000006CDC: 8F3D9852
	s_and_b32 s82, s82, 0xffffff                               // 000000006CE0: 8652FF52 00FFFFFF
	s_mul_i32 s82, s82, s71                                    // 000000006CE8: 92524752
	s_mul_i32 s61, s60, s61                                    // 000000006CEC: 923D3D3C
	s_add_u32 s82, s82, s61                                    // 000000006CF0: 80523D52
	v_mul_lo_u32 v7, v4, s82                                   // 000000006CF4: D2850007 0000A504
	v_add_u32_e32 v67, v6, v7                                  // 000000006CFC: 68860F06
	v_readlane_b32 s82, v3, 8                                  // 000000006D00: D2890052 00011103
	s_lshr_b32 s61, s82, 24                                    // 000000006D08: 8F3D9852
	s_and_b32 s82, s82, 0xffffff                               // 000000006D0C: 8652FF52 00FFFFFF
	s_mul_i32 s82, s82, s71                                    // 000000006D14: 92524752
	s_mul_i32 s61, s60, s61                                    // 000000006D18: 923D3D3C
	s_add_u32 s82, s82, s61                                    // 000000006D1C: 80523D52
	v_mul_lo_u32 v6, v5, s82                                   // 000000006D20: D2850006 0000A505
	v_readlane_b32 s82, v3, 9                                  // 000000006D28: D2890052 00011303
	s_lshr_b32 s61, s82, 24                                    // 000000006D30: 8F3D9852
	s_and_b32 s82, s82, 0xffffff                               // 000000006D34: 8652FF52 00FFFFFF
	s_mul_i32 s82, s82, s71                                    // 000000006D3C: 92524752
	s_mul_i32 s61, s60, s61                                    // 000000006D40: 923D3D3C
	s_add_u32 s82, s82, s61                                    // 000000006D44: 80523D52
	v_mul_lo_u32 v7, v4, s82                                   // 000000006D48: D2850007 0000A504
	v_add_u32_e32 v68, v6, v7                                  // 000000006D50: 68880F06
	v_readlane_b32 s82, v3, 10                                 // 000000006D54: D2890052 00011503
	s_lshr_b32 s61, s82, 24                                    // 000000006D5C: 8F3D9852
	s_and_b32 s82, s82, 0xffffff                               // 000000006D60: 8652FF52 00FFFFFF
	s_mul_i32 s82, s82, s71                                    // 000000006D68: 92524752
	s_mul_i32 s61, s60, s61                                    // 000000006D6C: 923D3D3C
	s_add_u32 s82, s82, s61                                    // 000000006D70: 80523D52
	v_mul_lo_u32 v6, v5, s82                                   // 000000006D74: D2850006 0000A505
	v_readlane_b32 s82, v3, 11                                 // 000000006D7C: D2890052 00011703
	s_lshr_b32 s61, s82, 24                                    // 000000006D84: 8F3D9852
	s_and_b32 s82, s82, 0xffffff                               // 000000006D88: 8652FF52 00FFFFFF
	s_mul_i32 s82, s82, s71                                    // 000000006D90: 92524752
	s_mul_i32 s61, s60, s61                                    // 000000006D94: 923D3D3C
	s_add_u32 s82, s82, s61                                    // 000000006D98: 80523D52
	v_mul_lo_u32 v7, v4, s82                                   // 000000006D9C: D2850007 0000A504
	v_add_u32_e32 v69, v6, v7                                  // 000000006DA4: 688A0F06
	v_readlane_b32 s82, v3, 12                                 // 000000006DA8: D2890052 00011903
	s_lshr_b32 s61, s82, 24                                    // 000000006DB0: 8F3D9852
	s_and_b32 s82, s82, 0xffffff                               // 000000006DB4: 8652FF52 00FFFFFF
	s_mul_i32 s82, s82, s71                                    // 000000006DBC: 92524752
	s_mul_i32 s61, s60, s61                                    // 000000006DC0: 923D3D3C
	s_add_u32 s82, s82, s61                                    // 000000006DC4: 80523D52
	v_mul_lo_u32 v6, v5, s82                                   // 000000006DC8: D2850006 0000A505
	v_readlane_b32 s82, v3, 13                                 // 000000006DD0: D2890052 00011B03
	s_lshr_b32 s61, s82, 24                                    // 000000006DD8: 8F3D9852
	s_and_b32 s82, s82, 0xffffff                               // 000000006DDC: 8652FF52 00FFFFFF
	s_mul_i32 s82, s82, s71                                    // 000000006DE4: 92524752
	s_mul_i32 s61, s60, s61                                    // 000000006DE8: 923D3D3C
	s_add_u32 s82, s82, s61                                    // 000000006DEC: 80523D52
	v_mul_lo_u32 v7, v4, s82                                   // 000000006DF0: D2850007 0000A504
	v_add_u32_e32 v70, v6, v7                                  // 000000006DF8: 688C0F06
	v_readlane_b32 s82, v3, 14                                 // 000000006DFC: D2890052 00011D03
	s_lshr_b32 s61, s82, 24                                    // 000000006E04: 8F3D9852
	s_and_b32 s82, s82, 0xffffff                               // 000000006E08: 8652FF52 00FFFFFF
	s_mul_i32 s82, s82, s71                                    // 000000006E10: 92524752
	s_mul_i32 s61, s60, s61                                    // 000000006E14: 923D3D3C
	s_add_u32 s82, s82, s61                                    // 000000006E18: 80523D52
	v_mul_lo_u32 v6, v5, s82                                   // 000000006E1C: D2850006 0000A505
	v_readlane_b32 s82, v3, 15                                 // 000000006E24: D2890052 00011F03
	s_lshr_b32 s61, s82, 24                                    // 000000006E2C: 8F3D9852
	s_and_b32 s82, s82, 0xffffff                               // 000000006E30: 8652FF52 00FFFFFF
	s_mul_i32 s82, s82, s71                                    // 000000006E38: 92524752
	s_mul_i32 s61, s60, s61                                    // 000000006E3C: 923D3D3C
	s_add_u32 s82, s82, s61                                    // 000000006E40: 80523D52
	v_mul_lo_u32 v7, v4, s82                                   // 000000006E44: D2850007 0000A504
	v_add_u32_e32 v71, v6, v7                                  // 000000006E4C: 688E0F06
	v_readlane_b32 s82, v3, 16                                 // 000000006E50: D2890052 00012103
	s_lshr_b32 s61, s82, 24                                    // 000000006E58: 8F3D9852
	s_and_b32 s82, s82, 0xffffff                               // 000000006E5C: 8652FF52 00FFFFFF
	s_mul_i32 s82, s82, s71                                    // 000000006E64: 92524752
	s_mul_i32 s61, s60, s61                                    // 000000006E68: 923D3D3C
	s_add_u32 s82, s82, s61                                    // 000000006E6C: 80523D52
	v_mul_lo_u32 v6, v5, s82                                   // 000000006E70: D2850006 0000A505
	v_readlane_b32 s82, v3, 17                                 // 000000006E78: D2890052 00012303
	s_lshr_b32 s61, s82, 24                                    // 000000006E80: 8F3D9852
	s_and_b32 s82, s82, 0xffffff                               // 000000006E84: 8652FF52 00FFFFFF
	s_mul_i32 s82, s82, s71                                    // 000000006E8C: 92524752
	s_mul_i32 s61, s60, s61                                    // 000000006E90: 923D3D3C
	s_add_u32 s82, s82, s61                                    // 000000006E94: 80523D52
	v_mul_lo_u32 v7, v4, s82                                   // 000000006E98: D2850007 0000A504
	v_add_u32_e32 v72, v6, v7                                  // 000000006EA0: 68900F06
	v_readlane_b32 s82, v3, 18                                 // 000000006EA4: D2890052 00012503
	s_lshr_b32 s61, s82, 24                                    // 000000006EAC: 8F3D9852
	s_and_b32 s82, s82, 0xffffff                               // 000000006EB0: 8652FF52 00FFFFFF
	s_mul_i32 s82, s82, s71                                    // 000000006EB8: 92524752
	s_mul_i32 s61, s60, s61                                    // 000000006EBC: 923D3D3C
	s_add_u32 s82, s82, s61                                    // 000000006EC0: 80523D52
	v_mul_lo_u32 v6, v5, s82                                   // 000000006EC4: D2850006 0000A505
	v_readlane_b32 s82, v3, 19                                 // 000000006ECC: D2890052 00012703
	s_lshr_b32 s61, s82, 24                                    // 000000006ED4: 8F3D9852
	s_and_b32 s82, s82, 0xffffff                               // 000000006ED8: 8652FF52 00FFFFFF
	s_mul_i32 s82, s82, s71                                    // 000000006EE0: 92524752
	s_mul_i32 s61, s60, s61                                    // 000000006EE4: 923D3D3C
	s_add_u32 s82, s82, s61                                    // 000000006EE8: 80523D52
	v_mul_lo_u32 v7, v4, s82                                   // 000000006EEC: D2850007 0000A504
	v_add_u32_e32 v73, v6, v7                                  // 000000006EF4: 68920F06
	v_readlane_b32 s82, v3, 20                                 // 000000006EF8: D2890052 00012903
	s_lshr_b32 s61, s82, 24                                    // 000000006F00: 8F3D9852
	s_and_b32 s82, s82, 0xffffff                               // 000000006F04: 8652FF52 00FFFFFF
	s_mul_i32 s82, s82, s71                                    // 000000006F0C: 92524752
	s_mul_i32 s61, s60, s61                                    // 000000006F10: 923D3D3C
	s_add_u32 s82, s82, s61                                    // 000000006F14: 80523D52
	v_mul_lo_u32 v6, v5, s82                                   // 000000006F18: D2850006 0000A505
	v_readlane_b32 s82, v3, 21                                 // 000000006F20: D2890052 00012B03
	s_lshr_b32 s61, s82, 24                                    // 000000006F28: 8F3D9852
	s_and_b32 s82, s82, 0xffffff                               // 000000006F2C: 8652FF52 00FFFFFF
	s_mul_i32 s82, s82, s71                                    // 000000006F34: 92524752
	s_mul_i32 s61, s60, s61                                    // 000000006F38: 923D3D3C
	s_add_u32 s82, s82, s61                                    // 000000006F3C: 80523D52
	v_mul_lo_u32 v7, v4, s82                                   // 000000006F40: D2850007 0000A504
	v_add_u32_e32 v74, v6, v7                                  // 000000006F48: 68940F06
	v_readlane_b32 s82, v3, 22                                 // 000000006F4C: D2890052 00012D03
	s_lshr_b32 s61, s82, 24                                    // 000000006F54: 8F3D9852
	s_and_b32 s82, s82, 0xffffff                               // 000000006F58: 8652FF52 00FFFFFF
	s_mul_i32 s82, s82, s71                                    // 000000006F60: 92524752
	s_mul_i32 s61, s60, s61                                    // 000000006F64: 923D3D3C
	s_add_u32 s82, s82, s61                                    // 000000006F68: 80523D52
	v_mul_lo_u32 v6, v5, s82                                   // 000000006F6C: D2850006 0000A505
	v_readlane_b32 s82, v3, 23                                 // 000000006F74: D2890052 00012F03
	s_lshr_b32 s61, s82, 24                                    // 000000006F7C: 8F3D9852
	s_and_b32 s82, s82, 0xffffff                               // 000000006F80: 8652FF52 00FFFFFF
	s_mul_i32 s82, s82, s71                                    // 000000006F88: 92524752
	s_mul_i32 s61, s60, s61                                    // 000000006F8C: 923D3D3C
	s_add_u32 s82, s82, s61                                    // 000000006F90: 80523D52
	v_mul_lo_u32 v7, v4, s82                                   // 000000006F94: D2850007 0000A504
	v_add_u32_e32 v75, v6, v7                                  // 000000006F9C: 68960F06
	v_readlane_b32 s82, v3, 24                                 // 000000006FA0: D2890052 00013103
	s_lshr_b32 s61, s82, 24                                    // 000000006FA8: 8F3D9852
	s_and_b32 s82, s82, 0xffffff                               // 000000006FAC: 8652FF52 00FFFFFF
	s_mul_i32 s82, s82, s71                                    // 000000006FB4: 92524752
	s_mul_i32 s61, s60, s61                                    // 000000006FB8: 923D3D3C
	s_add_u32 s82, s82, s61                                    // 000000006FBC: 80523D52
	v_mul_lo_u32 v6, v5, s82                                   // 000000006FC0: D2850006 0000A505
	v_readlane_b32 s82, v3, 25                                 // 000000006FC8: D2890052 00013303
	s_lshr_b32 s61, s82, 24                                    // 000000006FD0: 8F3D9852
	s_and_b32 s82, s82, 0xffffff                               // 000000006FD4: 8652FF52 00FFFFFF
	s_mul_i32 s82, s82, s71                                    // 000000006FDC: 92524752
	s_mul_i32 s61, s60, s61                                    // 000000006FE0: 923D3D3C
	s_add_u32 s82, s82, s61                                    // 000000006FE4: 80523D52
	v_mul_lo_u32 v7, v4, s82                                   // 000000006FE8: D2850007 0000A504
	v_add_u32_e32 v76, v6, v7                                  // 000000006FF0: 68980F06
	v_readlane_b32 s82, v3, 26                                 // 000000006FF4: D2890052 00013503
	s_lshr_b32 s61, s82, 24                                    // 000000006FFC: 8F3D9852
	s_and_b32 s82, s82, 0xffffff                               // 000000007000: 8652FF52 00FFFFFF
	s_mul_i32 s82, s82, s71                                    // 000000007008: 92524752
	s_mul_i32 s61, s60, s61                                    // 00000000700C: 923D3D3C
	s_add_u32 s82, s82, s61                                    // 000000007010: 80523D52
	v_mul_lo_u32 v6, v5, s82                                   // 000000007014: D2850006 0000A505
	v_readlane_b32 s82, v3, 27                                 // 00000000701C: D2890052 00013703
	s_lshr_b32 s61, s82, 24                                    // 000000007024: 8F3D9852
	s_and_b32 s82, s82, 0xffffff                               // 000000007028: 8652FF52 00FFFFFF
	s_mul_i32 s82, s82, s71                                    // 000000007030: 92524752
	s_mul_i32 s61, s60, s61                                    // 000000007034: 923D3D3C
	s_add_u32 s82, s82, s61                                    // 000000007038: 80523D52
	v_mul_lo_u32 v7, v4, s82                                   // 00000000703C: D2850007 0000A504
	v_add_u32_e32 v77, v6, v7                                  // 000000007044: 689A0F06
	v_readlane_b32 s82, v3, 28                                 // 000000007048: D2890052 00013903
	s_lshr_b32 s61, s82, 24                                    // 000000007050: 8F3D9852
	s_and_b32 s82, s82, 0xffffff                               // 000000007054: 8652FF52 00FFFFFF
	s_mul_i32 s82, s82, s71                                    // 00000000705C: 92524752
	s_mul_i32 s61, s60, s61                                    // 000000007060: 923D3D3C
	s_add_u32 s82, s82, s61                                    // 000000007064: 80523D52
	v_mul_lo_u32 v6, v5, s82                                   // 000000007068: D2850006 0000A505
	v_readlane_b32 s82, v3, 29                                 // 000000007070: D2890052 00013B03
	s_lshr_b32 s61, s82, 24                                    // 000000007078: 8F3D9852
	s_and_b32 s82, s82, 0xffffff                               // 00000000707C: 8652FF52 00FFFFFF
	s_mul_i32 s82, s82, s71                                    // 000000007084: 92524752
	s_mul_i32 s61, s60, s61                                    // 000000007088: 923D3D3C
	s_add_u32 s82, s82, s61                                    // 00000000708C: 80523D52
	v_mul_lo_u32 v7, v4, s82                                   // 000000007090: D2850007 0000A504
	v_add_u32_e32 v78, v6, v7                                  // 000000007098: 689C0F06
	v_readlane_b32 s82, v3, 30                                 // 00000000709C: D2890052 00013D03
	s_lshr_b32 s61, s82, 24                                    // 0000000070A4: 8F3D9852
	s_and_b32 s82, s82, 0xffffff                               // 0000000070A8: 8652FF52 00FFFFFF
	s_mul_i32 s82, s82, s71                                    // 0000000070B0: 92524752
	s_mul_i32 s61, s60, s61                                    // 0000000070B4: 923D3D3C
	s_add_u32 s82, s82, s61                                    // 0000000070B8: 80523D52
	v_mul_lo_u32 v6, v5, s82                                   // 0000000070BC: D2850006 0000A505
	v_readlane_b32 s82, v3, 31                                 // 0000000070C4: D2890052 00013F03
	s_lshr_b32 s61, s82, 24                                    // 0000000070CC: 8F3D9852
	s_and_b32 s82, s82, 0xffffff                               // 0000000070D0: 8652FF52 00FFFFFF
	s_mul_i32 s82, s82, s71                                    // 0000000070D8: 92524752
	s_mul_i32 s61, s60, s61                                    // 0000000070DC: 923D3D3C
	s_add_u32 s82, s82, s61                                    // 0000000070E0: 80523D52
	v_mul_lo_u32 v7, v4, s82                                   // 0000000070E4: D2850007 0000A504
	v_add_u32_e32 v79, v6, v7                                  // 0000000070EC: 689E0F06
	v_readlane_b32 s82, v3, 32                                 // 0000000070F0: D2890052 00014103
	s_lshr_b32 s61, s82, 24                                    // 0000000070F8: 8F3D9852
	s_and_b32 s82, s82, 0xffffff                               // 0000000070FC: 8652FF52 00FFFFFF
	s_mul_i32 s82, s82, s71                                    // 000000007104: 92524752
	s_mul_i32 s61, s60, s61                                    // 000000007108: 923D3D3C
	s_add_u32 s82, s82, s61                                    // 00000000710C: 80523D52
	v_mul_lo_u32 v6, v5, s82                                   // 000000007110: D2850006 0000A505
	v_readlane_b32 s82, v3, 33                                 // 000000007118: D2890052 00014303
	s_lshr_b32 s61, s82, 24                                    // 000000007120: 8F3D9852
	s_and_b32 s82, s82, 0xffffff                               // 000000007124: 8652FF52 00FFFFFF
	s_mul_i32 s82, s82, s71                                    // 00000000712C: 92524752
	s_mul_i32 s61, s60, s61                                    // 000000007130: 923D3D3C
	s_add_u32 s82, s82, s61                                    // 000000007134: 80523D52
	v_mul_lo_u32 v7, v4, s82                                   // 000000007138: D2850007 0000A504
	v_add_u32_e32 v80, v6, v7                                  // 000000007140: 68A00F06
	v_readlane_b32 s82, v3, 34                                 // 000000007144: D2890052 00014503
	s_lshr_b32 s61, s82, 24                                    // 00000000714C: 8F3D9852
	s_and_b32 s82, s82, 0xffffff                               // 000000007150: 8652FF52 00FFFFFF
	s_mul_i32 s82, s82, s71                                    // 000000007158: 92524752
	s_mul_i32 s61, s60, s61                                    // 00000000715C: 923D3D3C
	s_add_u32 s82, s82, s61                                    // 000000007160: 80523D52
	v_mul_lo_u32 v6, v5, s82                                   // 000000007164: D2850006 0000A505
	v_readlane_b32 s82, v3, 35                                 // 00000000716C: D2890052 00014703
	s_lshr_b32 s61, s82, 24                                    // 000000007174: 8F3D9852
	s_and_b32 s82, s82, 0xffffff                               // 000000007178: 8652FF52 00FFFFFF
	s_mul_i32 s82, s82, s71                                    // 000000007180: 92524752
	s_mul_i32 s61, s60, s61                                    // 000000007184: 923D3D3C
	s_add_u32 s82, s82, s61                                    // 000000007188: 80523D52
	v_mul_lo_u32 v7, v4, s82                                   // 00000000718C: D2850007 0000A504
	v_add_u32_e32 v81, v6, v7                                  // 000000007194: 68A20F06
	v_and_b32_e32 v4, 31, v0                                   // 000000007198: 2608009F
	v_lshrrev_b32_e32 v4, 1, v4                                // 00000000719C: 20080881
	s_cmp_eq_u32 s88, 0                                        // 0000000071A0: BF068058
	s_cselect_b32 s61, 2, 4                                    // 0000000071A4: 853D8482
	v_mul_lo_u32 v4, v4, s61                                   // 0000000071A8: D2850004 00007B04
	v_and_b32_e64 v5, v0, 1                                    // 0000000071B0: D1130005 00010300
	v_add_u32_e32 v4, v4, v5                                   // 0000000071B8: 68080B04
	v_lshlrev_b32_e32 v4, 2, v4                                // 0000000071BC: 24080882
	v_add_u32_e32 v64, v64, v4                                 // 0000000071C0: 68800940
	v_add_u32_e32 v65, v65, v4                                 // 0000000071C4: 68820941
	v_add_u32_e32 v66, v66, v4                                 // 0000000071C8: 68840942
	v_add_u32_e32 v67, v67, v4                                 // 0000000071CC: 68860943
	v_add_u32_e32 v68, v68, v4                                 // 0000000071D0: 68880944
	v_add_u32_e32 v69, v69, v4                                 // 0000000071D4: 688A0945
	v_add_u32_e32 v70, v70, v4                                 // 0000000071D8: 688C0946
	v_add_u32_e32 v71, v71, v4                                 // 0000000071DC: 688E0947
	v_add_u32_e32 v72, v72, v4                                 // 0000000071E0: 68900948
	v_add_u32_e32 v73, v73, v4                                 // 0000000071E4: 68920949
	v_add_u32_e32 v74, v74, v4                                 // 0000000071E8: 6894094A
	v_add_u32_e32 v75, v75, v4                                 // 0000000071EC: 6896094B
	v_add_u32_e32 v76, v76, v4                                 // 0000000071F0: 6898094C
	v_add_u32_e32 v77, v77, v4                                 // 0000000071F4: 689A094D
	v_add_u32_e32 v78, v78, v4                                 // 0000000071F8: 689C094E
	v_add_u32_e32 v79, v79, v4                                 // 0000000071FC: 689E094F
	v_add_u32_e32 v80, v80, v4                                 // 000000007200: 68A00950
	v_add_u32_e32 v81, v81, v4                                 // 000000007204: 68A20951
	s_waitcnt lgkmcnt(0)                                       // 000000007208: BF8CC07F
	s_barrier                                                  // 00000000720C: BF8A0000
	ds_read_b32 v84, v21                                       // 000000007210: D86C0000 54000015
	ds_read_b32 v85, v21 offset:64                             // 000000007218: D86C0040 55000015
	ds_read_b32 v86, v21 offset:2176                           // 000000007220: D86C0880 56000015
	ds_read_b32 v87, v21 offset:2240                           // 000000007228: D86C08C0 57000015
	ds_read_b32 v88, v21 offset:4352                           // 000000007230: D86C1100 58000015
	ds_read_b32 v89, v21 offset:4416                           // 000000007238: D86C1140 59000015
	ds_read_b32 v90, v21 offset:6528                           // 000000007240: D86C1980 5A000015
	ds_read_b32 v91, v21 offset:6592                           // 000000007248: D86C19C0 5B000015
	ds_read_b32 v92, v21 offset:8704                           // 000000007250: D86C2200 5C000015
	ds_read_b32 v93, v21 offset:8768                           // 000000007258: D86C2240 5D000015
	ds_read_b32 v94, v21 offset:10880                          // 000000007260: D86C2A80 5E000015
	ds_read_b32 v95, v21 offset:10944                          // 000000007268: D86C2AC0 5F000015
	ds_read_b32 v96, v21 offset:13056                          // 000000007270: D86C3300 60000015
	ds_read_b32 v97, v21 offset:13120                          // 000000007278: D86C3340 61000015
	ds_read_b32 v98, v21 offset:15232                          // 000000007280: D86C3B80 62000015
	ds_read_b32 v99, v21 offset:15296                          // 000000007288: D86C3BC0 63000015
	ds_read_b32 v100, v21 offset:17408                         // 000000007290: D86C4400 64000015
	ds_read_b32 v101, v21 offset:17472                         // 000000007298: D86C4440 65000015
	ds_read_b32 v102, v21 offset:19584                         // 0000000072A0: D86C4C80 66000015
	ds_read_b32 v103, v21 offset:19648                         // 0000000072A8: D86C4CC0 67000015
	ds_read_b32 v104, v21 offset:21760                         // 0000000072B0: D86C5500 68000015
	ds_read_b32 v105, v21 offset:21824                         // 0000000072B8: D86C5540 69000015
	ds_read_b32 v106, v21 offset:23936                         // 0000000072C0: D86C5D80 6A000015
	ds_read_b32 v107, v21 offset:24000                         // 0000000072C8: D86C5DC0 6B000015
	ds_read_b32 v108, v21 offset:26112                         // 0000000072D0: D86C6600 6C000015
	ds_read_b32 v109, v21 offset:26176                         // 0000000072D8: D86C6640 6D000015
	ds_read_b32 v110, v21 offset:28288                         // 0000000072E0: D86C6E80 6E000015
	ds_read_b32 v111, v21 offset:28352                         // 0000000072E8: D86C6EC0 6F000015
	ds_read_b32 v112, v21 offset:30464                         // 0000000072F0: D86C7700 70000015
	ds_read_b32 v113, v21 offset:30528                         // 0000000072F8: D86C7740 71000015
	ds_read_b32 v114, v21 offset:32640                         // 000000007300: D86C7F80 72000015
	ds_read_b32 v115, v21 offset:32704                         // 000000007308: D86C7FC0 73000015
	ds_read_b32 v116, v21 offset:34816                         // 000000007310: D86C8800 74000015
	ds_read_b32 v117, v21 offset:34880                         // 000000007318: D86C8840 75000015
	ds_read_b32 v118, v21 offset:36992                         // 000000007320: D86C9080 76000015
	ds_read_b32 v119, v21 offset:37056                         // 000000007328: D86C90C0 77000015
	s_waitcnt lgkmcnt(0)                                       // 000000007330: BF8CC07F
	s_mov_b32 s36, -1                                          // 000000007334: BEA400C1
	s_mov_b32 s37, -1                                          // 000000007338: BEA500C1
	v_mov_b32_e32 v7, 0                                        // 00000000733C: 7E0E0280
	s_or_b32 s9, s9, 0x40000                                   // 000000007340: 8709FF09 00040000
	s_mov_b64 exec, s[36:37]                                   // 000000007348: BEFE0124
	v_mov_b32_e32 v6, v64                                      // 00000000734C: 7E0C0340
	s_mov_b64 s[60:61], 0                                      // 000000007350: BEBC0180
	v_readlane_b32 s82, v3, 0                                  // 000000007354: D2890052 00010103
	s_and_b32 s82, s82, 0xffffff                               // 00000000735C: 8652FF52 00FFFFFF
	s_cmp_lt_u32 s82, s66                                      // 000000007364: BF0A4252
	s_cselect_b32 s20, s36, s60                                // 000000007368: 85143C24
	v_readlane_b32 s82, v3, 1                                  // 00000000736C: D2890052 00010303
	s_and_b32 s82, s82, 0xffffff                               // 000000007374: 8652FF52 00FFFFFF
	s_cmp_lt_u32 s82, s66                                      // 00000000737C: BF0A4252
	s_cselect_b32 s21, s36, s60                                // 000000007380: 85153C24
	s_mov_b64 exec, s[20:21]                                   // 000000007384: BEFE0114
	buffer_store_dword v84, v6, s[8:11], 0 offen               // 000000007388: E0701000 80025406
	buffer_store_dword v86, v6, s[8:11], 0 offen offset:128    // 000000007390: E0701080 80025606
	s_mov_b64 exec, s[36:37]                                   // 000000007398: BEFE0124
	v_mov_b32_e32 v6, v65                                      // 00000000739C: 7E0C0341
	s_mov_b64 s[60:61], 0                                      // 0000000073A0: BEBC0180
	v_readlane_b32 s82, v3, 2                                  // 0000000073A4: D2890052 00010503
	s_and_b32 s82, s82, 0xffffff                               // 0000000073AC: 8652FF52 00FFFFFF
	s_cmp_lt_u32 s82, s66                                      // 0000000073B4: BF0A4252
	s_cselect_b32 s20, s36, s60                                // 0000000073B8: 85143C24
	v_readlane_b32 s82, v3, 3                                  // 0000000073BC: D2890052 00010703
	s_and_b32 s82, s82, 0xffffff                               // 0000000073C4: 8652FF52 00FFFFFF
	s_cmp_lt_u32 s82, s66                                      // 0000000073CC: BF0A4252
	s_cselect_b32 s21, s36, s60                                // 0000000073D0: 85153C24
	s_mov_b64 exec, s[20:21]                                   // 0000000073D4: BEFE0114
	buffer_store_dword v85, v6, s[8:11], 0 offen               // 0000000073D8: E0701000 80025506
	buffer_store_dword v87, v6, s[8:11], 0 offen offset:128    // 0000000073E0: E0701080 80025706
	s_mov_b64 exec, s[36:37]                                   // 0000000073E8: BEFE0124
	v_mov_b32_e32 v6, v66                                      // 0000000073EC: 7E0C0342
	s_mov_b64 s[60:61], 0                                      // 0000000073F0: BEBC0180
	v_readlane_b32 s82, v3, 4                                  // 0000000073F4: D2890052 00010903
	s_and_b32 s82, s82, 0xffffff                               // 0000000073FC: 8652FF52 00FFFFFF
	s_cmp_lt_u32 s82, s66                                      // 000000007404: BF0A4252
	s_cselect_b32 s20, s36, s60                                // 000000007408: 85143C24
	v_readlane_b32 s82, v3, 5                                  // 00000000740C: D2890052 00010B03
	s_and_b32 s82, s82, 0xffffff                               // 000000007414: 8652FF52 00FFFFFF
	s_cmp_lt_u32 s82, s66                                      // 00000000741C: BF0A4252
	s_cselect_b32 s21, s36, s60                                // 000000007420: 85153C24
	s_mov_b64 exec, s[20:21]                                   // 000000007424: BEFE0114
	buffer_store_dword v88, v6, s[8:11], 0 offen               // 000000007428: E0701000 80025806
	buffer_store_dword v90, v6, s[8:11], 0 offen offset:128    // 000000007430: E0701080 80025A06
	s_mov_b64 exec, s[36:37]                                   // 000000007438: BEFE0124
	v_mov_b32_e32 v6, v67                                      // 00000000743C: 7E0C0343
	s_mov_b64 s[60:61], 0                                      // 000000007440: BEBC0180
	v_readlane_b32 s82, v3, 6                                  // 000000007444: D2890052 00010D03
	s_and_b32 s82, s82, 0xffffff                               // 00000000744C: 8652FF52 00FFFFFF
	s_cmp_lt_u32 s82, s66                                      // 000000007454: BF0A4252
	s_cselect_b32 s20, s36, s60                                // 000000007458: 85143C24
	v_readlane_b32 s82, v3, 7                                  // 00000000745C: D2890052 00010F03
	s_and_b32 s82, s82, 0xffffff                               // 000000007464: 8652FF52 00FFFFFF
	s_cmp_lt_u32 s82, s66                                      // 00000000746C: BF0A4252
	s_cselect_b32 s21, s36, s60                                // 000000007470: 85153C24
	s_mov_b64 exec, s[20:21]                                   // 000000007474: BEFE0114
	buffer_store_dword v89, v6, s[8:11], 0 offen               // 000000007478: E0701000 80025906
	buffer_store_dword v91, v6, s[8:11], 0 offen offset:128    // 000000007480: E0701080 80025B06
	s_mov_b64 exec, s[36:37]                                   // 000000007488: BEFE0124
	v_mov_b32_e32 v6, v68                                      // 00000000748C: 7E0C0344
	s_mov_b64 s[60:61], 0                                      // 000000007490: BEBC0180
	v_readlane_b32 s82, v3, 8                                  // 000000007494: D2890052 00011103
	s_and_b32 s82, s82, 0xffffff                               // 00000000749C: 8652FF52 00FFFFFF
	s_cmp_lt_u32 s82, s66                                      // 0000000074A4: BF0A4252
	s_cselect_b32 s20, s36, s60                                // 0000000074A8: 85143C24
	v_readlane_b32 s82, v3, 9                                  // 0000000074AC: D2890052 00011303
	s_and_b32 s82, s82, 0xffffff                               // 0000000074B4: 8652FF52 00FFFFFF
	s_cmp_lt_u32 s82, s66                                      // 0000000074BC: BF0A4252
	s_cselect_b32 s21, s36, s60                                // 0000000074C0: 85153C24
	s_mov_b64 exec, s[20:21]                                   // 0000000074C4: BEFE0114
	buffer_store_dword v92, v6, s[8:11], 0 offen               // 0000000074C8: E0701000 80025C06
	buffer_store_dword v94, v6, s[8:11], 0 offen offset:128    // 0000000074D0: E0701080 80025E06
	s_mov_b64 exec, s[36:37]                                   // 0000000074D8: BEFE0124
	v_mov_b32_e32 v6, v69                                      // 0000000074DC: 7E0C0345
	s_mov_b64 s[60:61], 0                                      // 0000000074E0: BEBC0180
	v_readlane_b32 s82, v3, 10                                 // 0000000074E4: D2890052 00011503
	s_and_b32 s82, s82, 0xffffff                               // 0000000074EC: 8652FF52 00FFFFFF
	s_cmp_lt_u32 s82, s66                                      // 0000000074F4: BF0A4252
	s_cselect_b32 s20, s36, s60                                // 0000000074F8: 85143C24
	v_readlane_b32 s82, v3, 11                                 // 0000000074FC: D2890052 00011703
	s_and_b32 s82, s82, 0xffffff                               // 000000007504: 8652FF52 00FFFFFF
	s_cmp_lt_u32 s82, s66                                      // 00000000750C: BF0A4252
	s_cselect_b32 s21, s36, s60                                // 000000007510: 85153C24
	s_mov_b64 exec, s[20:21]                                   // 000000007514: BEFE0114
	buffer_store_dword v93, v6, s[8:11], 0 offen               // 000000007518: E0701000 80025D06
	buffer_store_dword v95, v6, s[8:11], 0 offen offset:128    // 000000007520: E0701080 80025F06
	s_mov_b64 exec, s[36:37]                                   // 000000007528: BEFE0124
	v_mov_b32_e32 v6, v70                                      // 00000000752C: 7E0C0346
	s_mov_b64 s[60:61], 0                                      // 000000007530: BEBC0180
	v_readlane_b32 s82, v3, 12                                 // 000000007534: D2890052 00011903
	s_and_b32 s82, s82, 0xffffff                               // 00000000753C: 8652FF52 00FFFFFF
	s_cmp_lt_u32 s82, s66                                      // 000000007544: BF0A4252
	s_cselect_b32 s20, s36, s60                                // 000000007548: 85143C24
	v_readlane_b32 s82, v3, 13                                 // 00000000754C: D2890052 00011B03
	s_and_b32 s82, s82, 0xffffff                               // 000000007554: 8652FF52 00FFFFFF
	s_cmp_lt_u32 s82, s66                                      // 00000000755C: BF0A4252
	s_cselect_b32 s21, s36, s60                                // 000000007560: 85153C24
	s_mov_b64 exec, s[20:21]                                   // 000000007564: BEFE0114
	buffer_store_dword v96, v6, s[8:11], 0 offen               // 000000007568: E0701000 80026006
	buffer_store_dword v98, v6, s[8:11], 0 offen offset:128    // 000000007570: E0701080 80026206
	s_mov_b64 exec, s[36:37]                                   // 000000007578: BEFE0124
	v_mov_b32_e32 v6, v71                                      // 00000000757C: 7E0C0347
	s_mov_b64 s[60:61], 0                                      // 000000007580: BEBC0180
	v_readlane_b32 s82, v3, 14                                 // 000000007584: D2890052 00011D03
	s_and_b32 s82, s82, 0xffffff                               // 00000000758C: 8652FF52 00FFFFFF
	s_cmp_lt_u32 s82, s66                                      // 000000007594: BF0A4252
	s_cselect_b32 s20, s36, s60                                // 000000007598: 85143C24
	v_readlane_b32 s82, v3, 15                                 // 00000000759C: D2890052 00011F03
	s_and_b32 s82, s82, 0xffffff                               // 0000000075A4: 8652FF52 00FFFFFF
	s_cmp_lt_u32 s82, s66                                      // 0000000075AC: BF0A4252
	s_cselect_b32 s21, s36, s60                                // 0000000075B0: 85153C24
	s_mov_b64 exec, s[20:21]                                   // 0000000075B4: BEFE0114
	buffer_store_dword v97, v6, s[8:11], 0 offen               // 0000000075B8: E0701000 80026106
	buffer_store_dword v99, v6, s[8:11], 0 offen offset:128    // 0000000075C0: E0701080 80026306
	s_mov_b64 exec, s[36:37]                                   // 0000000075C8: BEFE0124
	v_mov_b32_e32 v6, v72                                      // 0000000075CC: 7E0C0348
	s_mov_b64 s[60:61], 0                                      // 0000000075D0: BEBC0180
	v_readlane_b32 s82, v3, 16                                 // 0000000075D4: D2890052 00012103
	s_and_b32 s82, s82, 0xffffff                               // 0000000075DC: 8652FF52 00FFFFFF
	s_cmp_lt_u32 s82, s66                                      // 0000000075E4: BF0A4252
	s_cselect_b32 s20, s36, s60                                // 0000000075E8: 85143C24
	v_readlane_b32 s82, v3, 17                                 // 0000000075EC: D2890052 00012303
	s_and_b32 s82, s82, 0xffffff                               // 0000000075F4: 8652FF52 00FFFFFF
	s_cmp_lt_u32 s82, s66                                      // 0000000075FC: BF0A4252
	s_cselect_b32 s21, s36, s60                                // 000000007600: 85153C24
	s_mov_b64 exec, s[20:21]                                   // 000000007604: BEFE0114
	buffer_store_dword v100, v6, s[8:11], 0 offen              // 000000007608: E0701000 80026406
	buffer_store_dword v102, v6, s[8:11], 0 offen offset:128   // 000000007610: E0701080 80026606
	s_mov_b64 exec, s[36:37]                                   // 000000007618: BEFE0124
	v_mov_b32_e32 v6, v73                                      // 00000000761C: 7E0C0349
	s_mov_b64 s[60:61], 0                                      // 000000007620: BEBC0180
	v_readlane_b32 s82, v3, 18                                 // 000000007624: D2890052 00012503
	s_and_b32 s82, s82, 0xffffff                               // 00000000762C: 8652FF52 00FFFFFF
	s_cmp_lt_u32 s82, s66                                      // 000000007634: BF0A4252
	s_cselect_b32 s20, s36, s60                                // 000000007638: 85143C24
	v_readlane_b32 s82, v3, 19                                 // 00000000763C: D2890052 00012703
	s_and_b32 s82, s82, 0xffffff                               // 000000007644: 8652FF52 00FFFFFF
	s_cmp_lt_u32 s82, s66                                      // 00000000764C: BF0A4252
	s_cselect_b32 s21, s36, s60                                // 000000007650: 85153C24
	s_mov_b64 exec, s[20:21]                                   // 000000007654: BEFE0114
	buffer_store_dword v101, v6, s[8:11], 0 offen              // 000000007658: E0701000 80026506
	buffer_store_dword v103, v6, s[8:11], 0 offen offset:128   // 000000007660: E0701080 80026706
	s_mov_b64 exec, s[36:37]                                   // 000000007668: BEFE0124
	v_mov_b32_e32 v6, v74                                      // 00000000766C: 7E0C034A
	s_mov_b64 s[60:61], 0                                      // 000000007670: BEBC0180
	v_readlane_b32 s82, v3, 20                                 // 000000007674: D2890052 00012903
	s_and_b32 s82, s82, 0xffffff                               // 00000000767C: 8652FF52 00FFFFFF
	s_cmp_lt_u32 s82, s66                                      // 000000007684: BF0A4252
	s_cselect_b32 s20, s36, s60                                // 000000007688: 85143C24
	v_readlane_b32 s82, v3, 21                                 // 00000000768C: D2890052 00012B03
	s_and_b32 s82, s82, 0xffffff                               // 000000007694: 8652FF52 00FFFFFF
	s_cmp_lt_u32 s82, s66                                      // 00000000769C: BF0A4252
	s_cselect_b32 s21, s36, s60                                // 0000000076A0: 85153C24
	s_mov_b64 exec, s[20:21]                                   // 0000000076A4: BEFE0114
	buffer_store_dword v104, v6, s[8:11], 0 offen              // 0000000076A8: E0701000 80026806
	buffer_store_dword v106, v6, s[8:11], 0 offen offset:128   // 0000000076B0: E0701080 80026A06
	s_mov_b64 exec, s[36:37]                                   // 0000000076B8: BEFE0124
	v_mov_b32_e32 v6, v75                                      // 0000000076BC: 7E0C034B
	s_mov_b64 s[60:61], 0                                      // 0000000076C0: BEBC0180
	v_readlane_b32 s82, v3, 22                                 // 0000000076C4: D2890052 00012D03
	s_and_b32 s82, s82, 0xffffff                               // 0000000076CC: 8652FF52 00FFFFFF
	s_cmp_lt_u32 s82, s66                                      // 0000000076D4: BF0A4252
	s_cselect_b32 s20, s36, s60                                // 0000000076D8: 85143C24
	v_readlane_b32 s82, v3, 23                                 // 0000000076DC: D2890052 00012F03
	s_and_b32 s82, s82, 0xffffff                               // 0000000076E4: 8652FF52 00FFFFFF
	s_cmp_lt_u32 s82, s66                                      // 0000000076EC: BF0A4252
	s_cselect_b32 s21, s36, s60                                // 0000000076F0: 85153C24
	s_mov_b64 exec, s[20:21]                                   // 0000000076F4: BEFE0114
	buffer_store_dword v105, v6, s[8:11], 0 offen              // 0000000076F8: E0701000 80026906
	buffer_store_dword v107, v6, s[8:11], 0 offen offset:128   // 000000007700: E0701080 80026B06
	s_mov_b64 exec, s[36:37]                                   // 000000007708: BEFE0124
	v_mov_b32_e32 v6, v76                                      // 00000000770C: 7E0C034C
	s_mov_b64 s[60:61], 0                                      // 000000007710: BEBC0180
	v_readlane_b32 s82, v3, 24                                 // 000000007714: D2890052 00013103
	s_and_b32 s82, s82, 0xffffff                               // 00000000771C: 8652FF52 00FFFFFF
	s_cmp_lt_u32 s82, s66                                      // 000000007724: BF0A4252
	s_cselect_b32 s20, s36, s60                                // 000000007728: 85143C24
	v_readlane_b32 s82, v3, 25                                 // 00000000772C: D2890052 00013303
	s_and_b32 s82, s82, 0xffffff                               // 000000007734: 8652FF52 00FFFFFF
	s_cmp_lt_u32 s82, s66                                      // 00000000773C: BF0A4252
	s_cselect_b32 s21, s36, s60                                // 000000007740: 85153C24
	s_mov_b64 exec, s[20:21]                                   // 000000007744: BEFE0114
	buffer_store_dword v108, v6, s[8:11], 0 offen              // 000000007748: E0701000 80026C06
	buffer_store_dword v110, v6, s[8:11], 0 offen offset:128   // 000000007750: E0701080 80026E06
	s_mov_b64 exec, s[36:37]                                   // 000000007758: BEFE0124
	v_mov_b32_e32 v6, v77                                      // 00000000775C: 7E0C034D
	s_mov_b64 s[60:61], 0                                      // 000000007760: BEBC0180
	v_readlane_b32 s82, v3, 26                                 // 000000007764: D2890052 00013503
	s_and_b32 s82, s82, 0xffffff                               // 00000000776C: 8652FF52 00FFFFFF
	s_cmp_lt_u32 s82, s66                                      // 000000007774: BF0A4252
	s_cselect_b32 s20, s36, s60                                // 000000007778: 85143C24
	v_readlane_b32 s82, v3, 27                                 // 00000000777C: D2890052 00013703
	s_and_b32 s82, s82, 0xffffff                               // 000000007784: 8652FF52 00FFFFFF
	s_cmp_lt_u32 s82, s66                                      // 00000000778C: BF0A4252
	s_cselect_b32 s21, s36, s60                                // 000000007790: 85153C24
	s_mov_b64 exec, s[20:21]                                   // 000000007794: BEFE0114
	buffer_store_dword v109, v6, s[8:11], 0 offen              // 000000007798: E0701000 80026D06
	buffer_store_dword v111, v6, s[8:11], 0 offen offset:128   // 0000000077A0: E0701080 80026F06
	s_mov_b64 exec, s[36:37]                                   // 0000000077A8: BEFE0124
	v_mov_b32_e32 v6, v78                                      // 0000000077AC: 7E0C034E
	s_mov_b64 s[60:61], 0                                      // 0000000077B0: BEBC0180
	v_readlane_b32 s82, v3, 28                                 // 0000000077B4: D2890052 00013903
	s_and_b32 s82, s82, 0xffffff                               // 0000000077BC: 8652FF52 00FFFFFF
	s_cmp_lt_u32 s82, s66                                      // 0000000077C4: BF0A4252
	s_cselect_b32 s20, s36, s60                                // 0000000077C8: 85143C24
	v_readlane_b32 s82, v3, 29                                 // 0000000077CC: D2890052 00013B03
	s_and_b32 s82, s82, 0xffffff                               // 0000000077D4: 8652FF52 00FFFFFF
	s_cmp_lt_u32 s82, s66                                      // 0000000077DC: BF0A4252
	s_cselect_b32 s21, s36, s60                                // 0000000077E0: 85153C24
	s_mov_b64 exec, s[20:21]                                   // 0000000077E4: BEFE0114
	buffer_store_dword v112, v6, s[8:11], 0 offen              // 0000000077E8: E0701000 80027006
	buffer_store_dword v114, v6, s[8:11], 0 offen offset:128   // 0000000077F0: E0701080 80027206
	s_mov_b64 exec, s[36:37]                                   // 0000000077F8: BEFE0124
	v_mov_b32_e32 v6, v79                                      // 0000000077FC: 7E0C034F
	s_mov_b64 s[60:61], 0                                      // 000000007800: BEBC0180
	v_readlane_b32 s82, v3, 30                                 // 000000007804: D2890052 00013D03
	s_and_b32 s82, s82, 0xffffff                               // 00000000780C: 8652FF52 00FFFFFF
	s_cmp_lt_u32 s82, s66                                      // 000000007814: BF0A4252
	s_cselect_b32 s20, s36, s60                                // 000000007818: 85143C24
	v_readlane_b32 s82, v3, 31                                 // 00000000781C: D2890052 00013F03
	s_and_b32 s82, s82, 0xffffff                               // 000000007824: 8652FF52 00FFFFFF
	s_cmp_lt_u32 s82, s66                                      // 00000000782C: BF0A4252
	s_cselect_b32 s21, s36, s60                                // 000000007830: 85153C24
	s_mov_b64 exec, s[20:21]                                   // 000000007834: BEFE0114
	buffer_store_dword v113, v6, s[8:11], 0 offen              // 000000007838: E0701000 80027106
	buffer_store_dword v115, v6, s[8:11], 0 offen offset:128   // 000000007840: E0701080 80027306
	s_mov_b64 exec, s[36:37]                                   // 000000007848: BEFE0124
	v_mov_b32_e32 v6, v80                                      // 00000000784C: 7E0C0350
	s_mov_b64 s[60:61], 0                                      // 000000007850: BEBC0180
	v_readlane_b32 s82, v3, 32                                 // 000000007854: D2890052 00014103
	s_and_b32 s82, s82, 0xffffff                               // 00000000785C: 8652FF52 00FFFFFF
	s_cmp_lt_u32 s82, s66                                      // 000000007864: BF0A4252
	s_cselect_b32 s20, s36, s60                                // 000000007868: 85143C24
	v_readlane_b32 s82, v3, 33                                 // 00000000786C: D2890052 00014303
	s_and_b32 s82, s82, 0xffffff                               // 000000007874: 8652FF52 00FFFFFF
	s_cmp_lt_u32 s82, s66                                      // 00000000787C: BF0A4252
	s_cselect_b32 s21, s36, s60                                // 000000007880: 85153C24
	s_mov_b64 exec, s[20:21]                                   // 000000007884: BEFE0114
	buffer_store_dword v116, v6, s[8:11], 0 offen              // 000000007888: E0701000 80027406
	buffer_store_dword v118, v6, s[8:11], 0 offen offset:128   // 000000007890: E0701080 80027606
	s_mov_b64 exec, s[36:37]                                   // 000000007898: BEFE0124
	v_mov_b32_e32 v6, v81                                      // 00000000789C: 7E0C0351
	s_mov_b64 s[60:61], 0                                      // 0000000078A0: BEBC0180
	v_readlane_b32 s82, v3, 34                                 // 0000000078A4: D2890052 00014503
	s_and_b32 s82, s82, 0xffffff                               // 0000000078AC: 8652FF52 00FFFFFF
	s_cmp_lt_u32 s82, s66                                      // 0000000078B4: BF0A4252
	s_cselect_b32 s20, s36, s60                                // 0000000078B8: 85143C24
	v_readlane_b32 s82, v3, 35                                 // 0000000078BC: D2890052 00014703
	s_and_b32 s82, s82, 0xffffff                               // 0000000078C4: 8652FF52 00FFFFFF
	s_cmp_lt_u32 s82, s66                                      // 0000000078CC: BF0A4252
	s_cselect_b32 s21, s36, s60                                // 0000000078D0: 85153C24
	s_mov_b64 exec, s[20:21]                                   // 0000000078D4: BEFE0114
	buffer_store_dword v117, v6, s[8:11], 0 offen              // 0000000078D8: E0701000 80027506
	buffer_store_dword v119, v6, s[8:11], 0 offen offset:128   // 0000000078E0: E0701080 80027706
	s_mov_b64 exec, s[36:37]                                   // 0000000078E8: BEFE0124
	s_branch label_358A                                        // 0000000078EC: BF8221CB

00000000000078f0 <label_13BC>:
	ds_write_b64 v20, v[84:85]                                 // 0000000078F0: D89A0000 00005414
	ds_write_b64 v20, v[88:89] offset:4352                     // 0000000078F8: D89A1100 00005814
	ds_write_b64 v20, v[92:93] offset:8704                     // 000000007900: D89A2200 00005C14
	ds_write_b64 v20, v[96:97] offset:13056                    // 000000007908: D89A3300 00006014
	ds_write_b64 v20, v[100:101] offset:17408                  // 000000007910: D89A4400 00006414
	ds_write_b64 v20, v[104:105] offset:21760                  // 000000007918: D89A5500 00006814
	ds_write_b64 v20, v[108:109] offset:26112                  // 000000007920: D89A6600 00006C14
	ds_write_b64 v20, v[112:113] offset:30464                  // 000000007928: D89A7700 00007014
	ds_write_b64 v20, v[116:117] offset:34816                  // 000000007930: D89A8800 00007414
	ds_write_b64 v20, v[120:121] offset:2176                   // 000000007938: D89A0880 00007814
	ds_write_b64 v20, v[124:125] offset:6528                   // 000000007940: D89A1980 00007C14
	ds_write_b64 v20, v[128:129] offset:10880                  // 000000007948: D89A2A80 00008014
	ds_write_b64 v20, v[132:133] offset:15232                  // 000000007950: D89A3B80 00008414
	ds_write_b64 v20, v[136:137] offset:19584                  // 000000007958: D89A4C80 00008814
	ds_write_b64 v20, v[140:141] offset:23936                  // 000000007960: D89A5D80 00008C14
	ds_write_b64 v20, v[144:145] offset:28288                  // 000000007968: D89A6E80 00009014
	ds_write_b64 v20, v[148:149] offset:32640                  // 000000007970: D89A7F80 00009414
	ds_write_b64 v20, v[152:153] offset:36992                  // 000000007978: D89A9080 00009814
	v_lshrrev_b32_e32 v4, 5, v0                                // 000000007980: 20080085
	v_xor_b32_e32 v5, 1, v4                                    // 000000007984: 2A0A0881
	s_mul_i32 s60, s65, 2                                      // 000000007988: 923C8241
	s_cmp_eq_u32 s88, 0                                        // 00000000798C: BF068058
	s_cselect_b32 s61, 1, 4                                    // 000000007990: 853D8481
	s_mul_i32 s60, s61, s60                                    // 000000007994: 923C3C3D
	v_readlane_b32 s82, v3, 0                                  // 000000007998: D2890052 00010103
	s_lshr_b32 s61, s82, 24                                    // 0000000079A0: 8F3D9852
	s_and_b32 s82, s82, 0xffffff                               // 0000000079A4: 8652FF52 00FFFFFF
	s_mul_i32 s82, s82, s71                                    // 0000000079AC: 92524752
	s_mul_i32 s61, s60, s61                                    // 0000000079B0: 923D3D3C
	s_add_u32 s82, s82, s61                                    // 0000000079B4: 80523D52
	v_mul_lo_u32 v6, v5, s82                                   // 0000000079B8: D2850006 0000A505
	v_readlane_b32 s82, v3, 1                                  // 0000000079C0: D2890052 00010303
	s_lshr_b32 s61, s82, 24                                    // 0000000079C8: 8F3D9852
	s_and_b32 s82, s82, 0xffffff                               // 0000000079CC: 8652FF52 00FFFFFF
	s_mul_i32 s82, s82, s71                                    // 0000000079D4: 92524752
	s_mul_i32 s61, s60, s61                                    // 0000000079D8: 923D3D3C
	s_add_u32 s82, s82, s61                                    // 0000000079DC: 80523D52
	v_mul_lo_u32 v7, v4, s82                                   // 0000000079E0: D2850007 0000A504
	v_add_u32_e32 v64, v6, v7                                  // 0000000079E8: 68800F06
	v_readlane_b32 s82, v3, 2                                  // 0000000079EC: D2890052 00010503
	s_lshr_b32 s61, s82, 24                                    // 0000000079F4: 8F3D9852
	s_and_b32 s82, s82, 0xffffff                               // 0000000079F8: 8652FF52 00FFFFFF
	s_mul_i32 s82, s82, s71                                    // 000000007A00: 92524752
	s_mul_i32 s61, s60, s61                                    // 000000007A04: 923D3D3C
	s_add_u32 s82, s82, s61                                    // 000000007A08: 80523D52
	v_mul_lo_u32 v6, v5, s82                                   // 000000007A0C: D2850006 0000A505
	v_readlane_b32 s82, v3, 3                                  // 000000007A14: D2890052 00010703
	s_lshr_b32 s61, s82, 24                                    // 000000007A1C: 8F3D9852
	s_and_b32 s82, s82, 0xffffff                               // 000000007A20: 8652FF52 00FFFFFF
	s_mul_i32 s82, s82, s71                                    // 000000007A28: 92524752
	s_mul_i32 s61, s60, s61                                    // 000000007A2C: 923D3D3C
	s_add_u32 s82, s82, s61                                    // 000000007A30: 80523D52
	v_mul_lo_u32 v7, v4, s82                                   // 000000007A34: D2850007 0000A504
	v_add_u32_e32 v65, v6, v7                                  // 000000007A3C: 68820F06
	v_readlane_b32 s82, v3, 4                                  // 000000007A40: D2890052 00010903
	s_lshr_b32 s61, s82, 24                                    // 000000007A48: 8F3D9852
	s_and_b32 s82, s82, 0xffffff                               // 000000007A4C: 8652FF52 00FFFFFF
	s_mul_i32 s82, s82, s71                                    // 000000007A54: 92524752
	s_mul_i32 s61, s60, s61                                    // 000000007A58: 923D3D3C
	s_add_u32 s82, s82, s61                                    // 000000007A5C: 80523D52
	v_mul_lo_u32 v6, v5, s82                                   // 000000007A60: D2850006 0000A505
	v_readlane_b32 s82, v3, 5                                  // 000000007A68: D2890052 00010B03
	s_lshr_b32 s61, s82, 24                                    // 000000007A70: 8F3D9852
	s_and_b32 s82, s82, 0xffffff                               // 000000007A74: 8652FF52 00FFFFFF
	s_mul_i32 s82, s82, s71                                    // 000000007A7C: 92524752
	s_mul_i32 s61, s60, s61                                    // 000000007A80: 923D3D3C
	s_add_u32 s82, s82, s61                                    // 000000007A84: 80523D52
	v_mul_lo_u32 v7, v4, s82                                   // 000000007A88: D2850007 0000A504
	v_add_u32_e32 v66, v6, v7                                  // 000000007A90: 68840F06
	v_readlane_b32 s82, v3, 6                                  // 000000007A94: D2890052 00010D03
	s_lshr_b32 s61, s82, 24                                    // 000000007A9C: 8F3D9852
	s_and_b32 s82, s82, 0xffffff                               // 000000007AA0: 8652FF52 00FFFFFF
	s_mul_i32 s82, s82, s71                                    // 000000007AA8: 92524752
	s_mul_i32 s61, s60, s61                                    // 000000007AAC: 923D3D3C
	s_add_u32 s82, s82, s61                                    // 000000007AB0: 80523D52
	v_mul_lo_u32 v6, v5, s82                                   // 000000007AB4: D2850006 0000A505
	v_readlane_b32 s82, v3, 7                                  // 000000007ABC: D2890052 00010F03
	s_lshr_b32 s61, s82, 24                                    // 000000007AC4: 8F3D9852
	s_and_b32 s82, s82, 0xffffff                               // 000000007AC8: 8652FF52 00FFFFFF
	s_mul_i32 s82, s82, s71                                    // 000000007AD0: 92524752
	s_mul_i32 s61, s60, s61                                    // 000000007AD4: 923D3D3C
	s_add_u32 s82, s82, s61                                    // 000000007AD8: 80523D52
	v_mul_lo_u32 v7, v4, s82                                   // 000000007ADC: D2850007 0000A504
	v_add_u32_e32 v67, v6, v7                                  // 000000007AE4: 68860F06
	v_readlane_b32 s82, v3, 8                                  // 000000007AE8: D2890052 00011103
	s_lshr_b32 s61, s82, 24                                    // 000000007AF0: 8F3D9852
	s_and_b32 s82, s82, 0xffffff                               // 000000007AF4: 8652FF52 00FFFFFF
	s_mul_i32 s82, s82, s71                                    // 000000007AFC: 92524752
	s_mul_i32 s61, s60, s61                                    // 000000007B00: 923D3D3C
	s_add_u32 s82, s82, s61                                    // 000000007B04: 80523D52
	v_mul_lo_u32 v6, v5, s82                                   // 000000007B08: D2850006 0000A505
	v_readlane_b32 s82, v3, 9                                  // 000000007B10: D2890052 00011303
	s_lshr_b32 s61, s82, 24                                    // 000000007B18: 8F3D9852
	s_and_b32 s82, s82, 0xffffff                               // 000000007B1C: 8652FF52 00FFFFFF
	s_mul_i32 s82, s82, s71                                    // 000000007B24: 92524752
	s_mul_i32 s61, s60, s61                                    // 000000007B28: 923D3D3C
	s_add_u32 s82, s82, s61                                    // 000000007B2C: 80523D52
	v_mul_lo_u32 v7, v4, s82                                   // 000000007B30: D2850007 0000A504
	v_add_u32_e32 v68, v6, v7                                  // 000000007B38: 68880F06
	v_readlane_b32 s82, v3, 10                                 // 000000007B3C: D2890052 00011503
	s_lshr_b32 s61, s82, 24                                    // 000000007B44: 8F3D9852
	s_and_b32 s82, s82, 0xffffff                               // 000000007B48: 8652FF52 00FFFFFF
	s_mul_i32 s82, s82, s71                                    // 000000007B50: 92524752
	s_mul_i32 s61, s60, s61                                    // 000000007B54: 923D3D3C
	s_add_u32 s82, s82, s61                                    // 000000007B58: 80523D52
	v_mul_lo_u32 v6, v5, s82                                   // 000000007B5C: D2850006 0000A505
	v_readlane_b32 s82, v3, 11                                 // 000000007B64: D2890052 00011703
	s_lshr_b32 s61, s82, 24                                    // 000000007B6C: 8F3D9852
	s_and_b32 s82, s82, 0xffffff                               // 000000007B70: 8652FF52 00FFFFFF
	s_mul_i32 s82, s82, s71                                    // 000000007B78: 92524752
	s_mul_i32 s61, s60, s61                                    // 000000007B7C: 923D3D3C
	s_add_u32 s82, s82, s61                                    // 000000007B80: 80523D52
	v_mul_lo_u32 v7, v4, s82                                   // 000000007B84: D2850007 0000A504
	v_add_u32_e32 v69, v6, v7                                  // 000000007B8C: 688A0F06
	v_readlane_b32 s82, v3, 12                                 // 000000007B90: D2890052 00011903
	s_lshr_b32 s61, s82, 24                                    // 000000007B98: 8F3D9852
	s_and_b32 s82, s82, 0xffffff                               // 000000007B9C: 8652FF52 00FFFFFF
	s_mul_i32 s82, s82, s71                                    // 000000007BA4: 92524752
	s_mul_i32 s61, s60, s61                                    // 000000007BA8: 923D3D3C
	s_add_u32 s82, s82, s61                                    // 000000007BAC: 80523D52
	v_mul_lo_u32 v6, v5, s82                                   // 000000007BB0: D2850006 0000A505
	v_readlane_b32 s82, v3, 13                                 // 000000007BB8: D2890052 00011B03
	s_lshr_b32 s61, s82, 24                                    // 000000007BC0: 8F3D9852
	s_and_b32 s82, s82, 0xffffff                               // 000000007BC4: 8652FF52 00FFFFFF
	s_mul_i32 s82, s82, s71                                    // 000000007BCC: 92524752
	s_mul_i32 s61, s60, s61                                    // 000000007BD0: 923D3D3C
	s_add_u32 s82, s82, s61                                    // 000000007BD4: 80523D52
	v_mul_lo_u32 v7, v4, s82                                   // 000000007BD8: D2850007 0000A504
	v_add_u32_e32 v70, v6, v7                                  // 000000007BE0: 688C0F06
	v_readlane_b32 s82, v3, 14                                 // 000000007BE4: D2890052 00011D03
	s_lshr_b32 s61, s82, 24                                    // 000000007BEC: 8F3D9852
	s_and_b32 s82, s82, 0xffffff                               // 000000007BF0: 8652FF52 00FFFFFF
	s_mul_i32 s82, s82, s71                                    // 000000007BF8: 92524752
	s_mul_i32 s61, s60, s61                                    // 000000007BFC: 923D3D3C
	s_add_u32 s82, s82, s61                                    // 000000007C00: 80523D52
	v_mul_lo_u32 v6, v5, s82                                   // 000000007C04: D2850006 0000A505
	v_readlane_b32 s82, v3, 15                                 // 000000007C0C: D2890052 00011F03
	s_lshr_b32 s61, s82, 24                                    // 000000007C14: 8F3D9852
	s_and_b32 s82, s82, 0xffffff                               // 000000007C18: 8652FF52 00FFFFFF
	s_mul_i32 s82, s82, s71                                    // 000000007C20: 92524752
	s_mul_i32 s61, s60, s61                                    // 000000007C24: 923D3D3C
	s_add_u32 s82, s82, s61                                    // 000000007C28: 80523D52
	v_mul_lo_u32 v7, v4, s82                                   // 000000007C2C: D2850007 0000A504
	v_add_u32_e32 v71, v6, v7                                  // 000000007C34: 688E0F06
	v_readlane_b32 s82, v3, 16                                 // 000000007C38: D2890052 00012103
	s_lshr_b32 s61, s82, 24                                    // 000000007C40: 8F3D9852
	s_and_b32 s82, s82, 0xffffff                               // 000000007C44: 8652FF52 00FFFFFF
	s_mul_i32 s82, s82, s71                                    // 000000007C4C: 92524752
	s_mul_i32 s61, s60, s61                                    // 000000007C50: 923D3D3C
	s_add_u32 s82, s82, s61                                    // 000000007C54: 80523D52
	v_mul_lo_u32 v6, v5, s82                                   // 000000007C58: D2850006 0000A505
	v_readlane_b32 s82, v3, 17                                 // 000000007C60: D2890052 00012303
	s_lshr_b32 s61, s82, 24                                    // 000000007C68: 8F3D9852
	s_and_b32 s82, s82, 0xffffff                               // 000000007C6C: 8652FF52 00FFFFFF
	s_mul_i32 s82, s82, s71                                    // 000000007C74: 92524752
	s_mul_i32 s61, s60, s61                                    // 000000007C78: 923D3D3C
	s_add_u32 s82, s82, s61                                    // 000000007C7C: 80523D52
	v_mul_lo_u32 v7, v4, s82                                   // 000000007C80: D2850007 0000A504
	v_add_u32_e32 v72, v6, v7                                  // 000000007C88: 68900F06
	v_readlane_b32 s82, v3, 18                                 // 000000007C8C: D2890052 00012503
	s_lshr_b32 s61, s82, 24                                    // 000000007C94: 8F3D9852
	s_and_b32 s82, s82, 0xffffff                               // 000000007C98: 8652FF52 00FFFFFF
	s_mul_i32 s82, s82, s71                                    // 000000007CA0: 92524752
	s_mul_i32 s61, s60, s61                                    // 000000007CA4: 923D3D3C
	s_add_u32 s82, s82, s61                                    // 000000007CA8: 80523D52
	v_mul_lo_u32 v6, v5, s82                                   // 000000007CAC: D2850006 0000A505
	v_readlane_b32 s82, v3, 19                                 // 000000007CB4: D2890052 00012703
	s_lshr_b32 s61, s82, 24                                    // 000000007CBC: 8F3D9852
	s_and_b32 s82, s82, 0xffffff                               // 000000007CC0: 8652FF52 00FFFFFF
	s_mul_i32 s82, s82, s71                                    // 000000007CC8: 92524752
	s_mul_i32 s61, s60, s61                                    // 000000007CCC: 923D3D3C
	s_add_u32 s82, s82, s61                                    // 000000007CD0: 80523D52
	v_mul_lo_u32 v7, v4, s82                                   // 000000007CD4: D2850007 0000A504
	v_add_u32_e32 v73, v6, v7                                  // 000000007CDC: 68920F06
	v_readlane_b32 s82, v3, 20                                 // 000000007CE0: D2890052 00012903
	s_lshr_b32 s61, s82, 24                                    // 000000007CE8: 8F3D9852
	s_and_b32 s82, s82, 0xffffff                               // 000000007CEC: 8652FF52 00FFFFFF
	s_mul_i32 s82, s82, s71                                    // 000000007CF4: 92524752
	s_mul_i32 s61, s60, s61                                    // 000000007CF8: 923D3D3C
	s_add_u32 s82, s82, s61                                    // 000000007CFC: 80523D52
	v_mul_lo_u32 v6, v5, s82                                   // 000000007D00: D2850006 0000A505
	v_readlane_b32 s82, v3, 21                                 // 000000007D08: D2890052 00012B03
	s_lshr_b32 s61, s82, 24                                    // 000000007D10: 8F3D9852
	s_and_b32 s82, s82, 0xffffff                               // 000000007D14: 8652FF52 00FFFFFF
	s_mul_i32 s82, s82, s71                                    // 000000007D1C: 92524752
	s_mul_i32 s61, s60, s61                                    // 000000007D20: 923D3D3C
	s_add_u32 s82, s82, s61                                    // 000000007D24: 80523D52
	v_mul_lo_u32 v7, v4, s82                                   // 000000007D28: D2850007 0000A504
	v_add_u32_e32 v74, v6, v7                                  // 000000007D30: 68940F06
	v_readlane_b32 s82, v3, 22                                 // 000000007D34: D2890052 00012D03
	s_lshr_b32 s61, s82, 24                                    // 000000007D3C: 8F3D9852
	s_and_b32 s82, s82, 0xffffff                               // 000000007D40: 8652FF52 00FFFFFF
	s_mul_i32 s82, s82, s71                                    // 000000007D48: 92524752
	s_mul_i32 s61, s60, s61                                    // 000000007D4C: 923D3D3C
	s_add_u32 s82, s82, s61                                    // 000000007D50: 80523D52
	v_mul_lo_u32 v6, v5, s82                                   // 000000007D54: D2850006 0000A505
	v_readlane_b32 s82, v3, 23                                 // 000000007D5C: D2890052 00012F03
	s_lshr_b32 s61, s82, 24                                    // 000000007D64: 8F3D9852
	s_and_b32 s82, s82, 0xffffff                               // 000000007D68: 8652FF52 00FFFFFF
	s_mul_i32 s82, s82, s71                                    // 000000007D70: 92524752
	s_mul_i32 s61, s60, s61                                    // 000000007D74: 923D3D3C
	s_add_u32 s82, s82, s61                                    // 000000007D78: 80523D52
	v_mul_lo_u32 v7, v4, s82                                   // 000000007D7C: D2850007 0000A504
	v_add_u32_e32 v75, v6, v7                                  // 000000007D84: 68960F06
	v_readlane_b32 s82, v3, 24                                 // 000000007D88: D2890052 00013103
	s_lshr_b32 s61, s82, 24                                    // 000000007D90: 8F3D9852
	s_and_b32 s82, s82, 0xffffff                               // 000000007D94: 8652FF52 00FFFFFF
	s_mul_i32 s82, s82, s71                                    // 000000007D9C: 92524752
	s_mul_i32 s61, s60, s61                                    // 000000007DA0: 923D3D3C
	s_add_u32 s82, s82, s61                                    // 000000007DA4: 80523D52
	v_mul_lo_u32 v6, v5, s82                                   // 000000007DA8: D2850006 0000A505
	v_readlane_b32 s82, v3, 25                                 // 000000007DB0: D2890052 00013303
	s_lshr_b32 s61, s82, 24                                    // 000000007DB8: 8F3D9852
	s_and_b32 s82, s82, 0xffffff                               // 000000007DBC: 8652FF52 00FFFFFF
	s_mul_i32 s82, s82, s71                                    // 000000007DC4: 92524752
	s_mul_i32 s61, s60, s61                                    // 000000007DC8: 923D3D3C
	s_add_u32 s82, s82, s61                                    // 000000007DCC: 80523D52
	v_mul_lo_u32 v7, v4, s82                                   // 000000007DD0: D2850007 0000A504
	v_add_u32_e32 v76, v6, v7                                  // 000000007DD8: 68980F06
	v_readlane_b32 s82, v3, 26                                 // 000000007DDC: D2890052 00013503
	s_lshr_b32 s61, s82, 24                                    // 000000007DE4: 8F3D9852
	s_and_b32 s82, s82, 0xffffff                               // 000000007DE8: 8652FF52 00FFFFFF
	s_mul_i32 s82, s82, s71                                    // 000000007DF0: 92524752
	s_mul_i32 s61, s60, s61                                    // 000000007DF4: 923D3D3C
	s_add_u32 s82, s82, s61                                    // 000000007DF8: 80523D52
	v_mul_lo_u32 v6, v5, s82                                   // 000000007DFC: D2850006 0000A505
	v_readlane_b32 s82, v3, 27                                 // 000000007E04: D2890052 00013703
	s_lshr_b32 s61, s82, 24                                    // 000000007E0C: 8F3D9852
	s_and_b32 s82, s82, 0xffffff                               // 000000007E10: 8652FF52 00FFFFFF
	s_mul_i32 s82, s82, s71                                    // 000000007E18: 92524752
	s_mul_i32 s61, s60, s61                                    // 000000007E1C: 923D3D3C
	s_add_u32 s82, s82, s61                                    // 000000007E20: 80523D52
	v_mul_lo_u32 v7, v4, s82                                   // 000000007E24: D2850007 0000A504
	v_add_u32_e32 v77, v6, v7                                  // 000000007E2C: 689A0F06
	v_readlane_b32 s82, v3, 28                                 // 000000007E30: D2890052 00013903
	s_lshr_b32 s61, s82, 24                                    // 000000007E38: 8F3D9852
	s_and_b32 s82, s82, 0xffffff                               // 000000007E3C: 8652FF52 00FFFFFF
	s_mul_i32 s82, s82, s71                                    // 000000007E44: 92524752
	s_mul_i32 s61, s60, s61                                    // 000000007E48: 923D3D3C
	s_add_u32 s82, s82, s61                                    // 000000007E4C: 80523D52
	v_mul_lo_u32 v6, v5, s82                                   // 000000007E50: D2850006 0000A505
	v_readlane_b32 s82, v3, 29                                 // 000000007E58: D2890052 00013B03
	s_lshr_b32 s61, s82, 24                                    // 000000007E60: 8F3D9852
	s_and_b32 s82, s82, 0xffffff                               // 000000007E64: 8652FF52 00FFFFFF
	s_mul_i32 s82, s82, s71                                    // 000000007E6C: 92524752
	s_mul_i32 s61, s60, s61                                    // 000000007E70: 923D3D3C
	s_add_u32 s82, s82, s61                                    // 000000007E74: 80523D52
	v_mul_lo_u32 v7, v4, s82                                   // 000000007E78: D2850007 0000A504
	v_add_u32_e32 v78, v6, v7                                  // 000000007E80: 689C0F06
	v_readlane_b32 s82, v3, 30                                 // 000000007E84: D2890052 00013D03
	s_lshr_b32 s61, s82, 24                                    // 000000007E8C: 8F3D9852
	s_and_b32 s82, s82, 0xffffff                               // 000000007E90: 8652FF52 00FFFFFF
	s_mul_i32 s82, s82, s71                                    // 000000007E98: 92524752
	s_mul_i32 s61, s60, s61                                    // 000000007E9C: 923D3D3C
	s_add_u32 s82, s82, s61                                    // 000000007EA0: 80523D52
	v_mul_lo_u32 v6, v5, s82                                   // 000000007EA4: D2850006 0000A505
	v_readlane_b32 s82, v3, 31                                 // 000000007EAC: D2890052 00013F03
	s_lshr_b32 s61, s82, 24                                    // 000000007EB4: 8F3D9852
	s_and_b32 s82, s82, 0xffffff                               // 000000007EB8: 8652FF52 00FFFFFF
	s_mul_i32 s82, s82, s71                                    // 000000007EC0: 92524752
	s_mul_i32 s61, s60, s61                                    // 000000007EC4: 923D3D3C
	s_add_u32 s82, s82, s61                                    // 000000007EC8: 80523D52
	v_mul_lo_u32 v7, v4, s82                                   // 000000007ECC: D2850007 0000A504
	v_add_u32_e32 v79, v6, v7                                  // 000000007ED4: 689E0F06
	v_readlane_b32 s82, v3, 32                                 // 000000007ED8: D2890052 00014103
	s_lshr_b32 s61, s82, 24                                    // 000000007EE0: 8F3D9852
	s_and_b32 s82, s82, 0xffffff                               // 000000007EE4: 8652FF52 00FFFFFF
	s_mul_i32 s82, s82, s71                                    // 000000007EEC: 92524752
	s_mul_i32 s61, s60, s61                                    // 000000007EF0: 923D3D3C
	s_add_u32 s82, s82, s61                                    // 000000007EF4: 80523D52
	v_mul_lo_u32 v6, v5, s82                                   // 000000007EF8: D2850006 0000A505
	v_readlane_b32 s82, v3, 33                                 // 000000007F00: D2890052 00014303
	s_lshr_b32 s61, s82, 24                                    // 000000007F08: 8F3D9852
	s_and_b32 s82, s82, 0xffffff                               // 000000007F0C: 8652FF52 00FFFFFF
	s_mul_i32 s82, s82, s71                                    // 000000007F14: 92524752
	s_mul_i32 s61, s60, s61                                    // 000000007F18: 923D3D3C
	s_add_u32 s82, s82, s61                                    // 000000007F1C: 80523D52
	v_mul_lo_u32 v7, v4, s82                                   // 000000007F20: D2850007 0000A504
	v_add_u32_e32 v80, v6, v7                                  // 000000007F28: 68A00F06
	v_readlane_b32 s82, v3, 34                                 // 000000007F2C: D2890052 00014503
	s_lshr_b32 s61, s82, 24                                    // 000000007F34: 8F3D9852
	s_and_b32 s82, s82, 0xffffff                               // 000000007F38: 8652FF52 00FFFFFF
	s_mul_i32 s82, s82, s71                                    // 000000007F40: 92524752
	s_mul_i32 s61, s60, s61                                    // 000000007F44: 923D3D3C
	s_add_u32 s82, s82, s61                                    // 000000007F48: 80523D52
	v_mul_lo_u32 v6, v5, s82                                   // 000000007F4C: D2850006 0000A505
	v_readlane_b32 s82, v3, 35                                 // 000000007F54: D2890052 00014703
	s_lshr_b32 s61, s82, 24                                    // 000000007F5C: 8F3D9852
	s_and_b32 s82, s82, 0xffffff                               // 000000007F60: 8652FF52 00FFFFFF
	s_mul_i32 s82, s82, s71                                    // 000000007F68: 92524752
	s_mul_i32 s61, s60, s61                                    // 000000007F6C: 923D3D3C
	s_add_u32 s82, s82, s61                                    // 000000007F70: 80523D52
	v_mul_lo_u32 v7, v4, s82                                   // 000000007F74: D2850007 0000A504
	v_add_u32_e32 v81, v6, v7                                  // 000000007F7C: 68A20F06
	v_and_b32_e32 v4, 31, v0                                   // 000000007F80: 2608009F
	v_lshrrev_b32_e32 v4, 1, v4                                // 000000007F84: 20080881
	s_cmp_eq_u32 s88, 0                                        // 000000007F88: BF068058
	s_cselect_b32 s61, 2, 4                                    // 000000007F8C: 853D8482
	v_mul_lo_u32 v4, v4, s61                                   // 000000007F90: D2850004 00007B04
	v_and_b32_e64 v5, v0, 1                                    // 000000007F98: D1130005 00010300
	v_add_u32_e32 v4, v4, v5                                   // 000000007FA0: 68080B04
	v_lshlrev_b32_e32 v4, 2, v4                                // 000000007FA4: 24080882
	v_add_u32_e32 v64, v64, v4                                 // 000000007FA8: 68800940
	v_add_u32_e32 v65, v65, v4                                 // 000000007FAC: 68820941
	v_add_u32_e32 v66, v66, v4                                 // 000000007FB0: 68840942
	v_add_u32_e32 v67, v67, v4                                 // 000000007FB4: 68860943
	v_add_u32_e32 v68, v68, v4                                 // 000000007FB8: 68880944
	v_add_u32_e32 v69, v69, v4                                 // 000000007FBC: 688A0945
	v_add_u32_e32 v70, v70, v4                                 // 000000007FC0: 688C0946
	v_add_u32_e32 v71, v71, v4                                 // 000000007FC4: 688E0947
	v_add_u32_e32 v72, v72, v4                                 // 000000007FC8: 68900948
	v_add_u32_e32 v73, v73, v4                                 // 000000007FCC: 68920949
	v_add_u32_e32 v74, v74, v4                                 // 000000007FD0: 6894094A
	v_add_u32_e32 v75, v75, v4                                 // 000000007FD4: 6896094B
	v_add_u32_e32 v76, v76, v4                                 // 000000007FD8: 6898094C
	v_add_u32_e32 v77, v77, v4                                 // 000000007FDC: 689A094D
	v_add_u32_e32 v78, v78, v4                                 // 000000007FE0: 689C094E
	v_add_u32_e32 v79, v79, v4                                 // 000000007FE4: 689E094F
	v_add_u32_e32 v80, v80, v4                                 // 000000007FE8: 68A00950
	v_add_u32_e32 v81, v81, v4                                 // 000000007FEC: 68A20951
	s_waitcnt lgkmcnt(0)                                       // 000000007FF0: BF8CC07F
	s_barrier                                                  // 000000007FF4: BF8A0000
	ds_read_b32 v84, v21                                       // 000000007FF8: D86C0000 54000015
	ds_read_b32 v85, v21 offset:64                             // 000000008000: D86C0040 55000015
	ds_read_b32 v88, v21 offset:2176                           // 000000008008: D86C0880 58000015
	ds_read_b32 v89, v21 offset:2240                           // 000000008010: D86C08C0 59000015
	ds_read_b32 v92, v21 offset:4352                           // 000000008018: D86C1100 5C000015
	ds_read_b32 v93, v21 offset:4416                           // 000000008020: D86C1140 5D000015
	ds_read_b32 v96, v21 offset:6528                           // 000000008028: D86C1980 60000015
	ds_read_b32 v97, v21 offset:6592                           // 000000008030: D86C19C0 61000015
	ds_read_b32 v100, v21 offset:8704                          // 000000008038: D86C2200 64000015
	ds_read_b32 v101, v21 offset:8768                          // 000000008040: D86C2240 65000015
	ds_read_b32 v104, v21 offset:10880                         // 000000008048: D86C2A80 68000015
	ds_read_b32 v105, v21 offset:10944                         // 000000008050: D86C2AC0 69000015
	ds_read_b32 v108, v21 offset:13056                         // 000000008058: D86C3300 6C000015
	ds_read_b32 v109, v21 offset:13120                         // 000000008060: D86C3340 6D000015
	ds_read_b32 v112, v21 offset:15232                         // 000000008068: D86C3B80 70000015
	ds_read_b32 v113, v21 offset:15296                         // 000000008070: D86C3BC0 71000015
	ds_read_b32 v116, v21 offset:17408                         // 000000008078: D86C4400 74000015
	ds_read_b32 v117, v21 offset:17472                         // 000000008080: D86C4440 75000015
	ds_read_b32 v120, v21 offset:19584                         // 000000008088: D86C4C80 78000015
	ds_read_b32 v121, v21 offset:19648                         // 000000008090: D86C4CC0 79000015
	ds_read_b32 v124, v21 offset:21760                         // 000000008098: D86C5500 7C000015
	ds_read_b32 v125, v21 offset:21824                         // 0000000080A0: D86C5540 7D000015
	ds_read_b32 v128, v21 offset:23936                         // 0000000080A8: D86C5D80 80000015
	ds_read_b32 v129, v21 offset:24000                         // 0000000080B0: D86C5DC0 81000015
	ds_read_b32 v132, v21 offset:26112                         // 0000000080B8: D86C6600 84000015
	ds_read_b32 v133, v21 offset:26176                         // 0000000080C0: D86C6640 85000015
	ds_read_b32 v136, v21 offset:28288                         // 0000000080C8: D86C6E80 88000015
	ds_read_b32 v137, v21 offset:28352                         // 0000000080D0: D86C6EC0 89000015
	ds_read_b32 v140, v21 offset:30464                         // 0000000080D8: D86C7700 8C000015
	ds_read_b32 v141, v21 offset:30528                         // 0000000080E0: D86C7740 8D000015
	ds_read_b32 v144, v21 offset:32640                         // 0000000080E8: D86C7F80 90000015
	ds_read_b32 v145, v21 offset:32704                         // 0000000080F0: D86C7FC0 91000015
	ds_read_b32 v148, v21 offset:34816                         // 0000000080F8: D86C8800 94000015
	ds_read_b32 v149, v21 offset:34880                         // 000000008100: D86C8840 95000015
	ds_read_b32 v152, v21 offset:36992                         // 000000008108: D86C9080 98000015
	ds_read_b32 v153, v21 offset:37056                         // 000000008110: D86C90C0 99000015
	s_waitcnt lgkmcnt(0)                                       // 000000008118: BF8CC07F
	s_mov_b32 s36, -1                                          // 00000000811C: BEA400C1
	s_mov_b32 s37, -1                                          // 000000008120: BEA500C1
	v_mov_b32_e32 v7, 0                                        // 000000008124: 7E0E0280
	s_mov_b64 exec, s[36:37]                                   // 000000008128: BEFE0124
	v_mov_b32_e32 v6, v64                                      // 00000000812C: 7E0C0340
	s_mov_b64 s[60:61], 0                                      // 000000008130: BEBC0180
	v_readlane_b32 s82, v3, 0                                  // 000000008134: D2890052 00010103
	s_and_b32 s82, s82, 0xffffff                               // 00000000813C: 8652FF52 00FFFFFF
	s_cmp_lt_u32 s82, s66                                      // 000000008144: BF0A4252
	s_cselect_b32 s20, s36, s60                                // 000000008148: 85143C24
	v_readlane_b32 s82, v3, 1                                  // 00000000814C: D2890052 00010303
	s_and_b32 s82, s82, 0xffffff                               // 000000008154: 8652FF52 00FFFFFF
	s_cmp_lt_u32 s82, s66                                      // 00000000815C: BF0A4252
	s_cselect_b32 s21, s36, s60                                // 000000008160: 85153C24
	s_mov_b64 exec, s[20:21]                                   // 000000008164: BEFE0114
	global_atomic_add_f32 v6, v84, s[8:9]                      // 000000008168: DD348000 00085406
	global_atomic_add_f32 v6, v88, s[8:9] offset:256           // 000000008170: DD348100 00085806
	s_mov_b64 exec, s[36:37]                                   // 000000008178: BEFE0124
	v_mov_b32_e32 v6, v65                                      // 00000000817C: 7E0C0341
	s_mov_b64 s[60:61], 0                                      // 000000008180: BEBC0180
	v_readlane_b32 s82, v3, 2                                  // 000000008184: D2890052 00010503
	s_and_b32 s82, s82, 0xffffff                               // 00000000818C: 8652FF52 00FFFFFF
	s_cmp_lt_u32 s82, s66                                      // 000000008194: BF0A4252
	s_cselect_b32 s20, s36, s60                                // 000000008198: 85143C24
	v_readlane_b32 s82, v3, 3                                  // 00000000819C: D2890052 00010703
	s_and_b32 s82, s82, 0xffffff                               // 0000000081A4: 8652FF52 00FFFFFF
	s_cmp_lt_u32 s82, s66                                      // 0000000081AC: BF0A4252
	s_cselect_b32 s21, s36, s60                                // 0000000081B0: 85153C24
	s_mov_b64 exec, s[20:21]                                   // 0000000081B4: BEFE0114
	global_atomic_add_f32 v6, v85, s[8:9]                      // 0000000081B8: DD348000 00085506
	global_atomic_add_f32 v6, v89, s[8:9] offset:256           // 0000000081C0: DD348100 00085906
	s_mov_b64 exec, s[36:37]                                   // 0000000081C8: BEFE0124
	v_mov_b32_e32 v6, v66                                      // 0000000081CC: 7E0C0342
	s_mov_b64 s[60:61], 0                                      // 0000000081D0: BEBC0180
	v_readlane_b32 s82, v3, 4                                  // 0000000081D4: D2890052 00010903
	s_and_b32 s82, s82, 0xffffff                               // 0000000081DC: 8652FF52 00FFFFFF
	s_cmp_lt_u32 s82, s66                                      // 0000000081E4: BF0A4252
	s_cselect_b32 s20, s36, s60                                // 0000000081E8: 85143C24
	v_readlane_b32 s82, v3, 5                                  // 0000000081EC: D2890052 00010B03
	s_and_b32 s82, s82, 0xffffff                               // 0000000081F4: 8652FF52 00FFFFFF
	s_cmp_lt_u32 s82, s66                                      // 0000000081FC: BF0A4252
	s_cselect_b32 s21, s36, s60                                // 000000008200: 85153C24
	s_mov_b64 exec, s[20:21]                                   // 000000008204: BEFE0114
	global_atomic_add_f32 v6, v92, s[8:9]                      // 000000008208: DD348000 00085C06
	global_atomic_add_f32 v6, v96, s[8:9] offset:256           // 000000008210: DD348100 00086006
	s_mov_b64 exec, s[36:37]                                   // 000000008218: BEFE0124
	v_mov_b32_e32 v6, v67                                      // 00000000821C: 7E0C0343
	s_mov_b64 s[60:61], 0                                      // 000000008220: BEBC0180
	v_readlane_b32 s82, v3, 6                                  // 000000008224: D2890052 00010D03
	s_and_b32 s82, s82, 0xffffff                               // 00000000822C: 8652FF52 00FFFFFF
	s_cmp_lt_u32 s82, s66                                      // 000000008234: BF0A4252
	s_cselect_b32 s20, s36, s60                                // 000000008238: 85143C24
	v_readlane_b32 s82, v3, 7                                  // 00000000823C: D2890052 00010F03
	s_and_b32 s82, s82, 0xffffff                               // 000000008244: 8652FF52 00FFFFFF
	s_cmp_lt_u32 s82, s66                                      // 00000000824C: BF0A4252
	s_cselect_b32 s21, s36, s60                                // 000000008250: 85153C24
	s_mov_b64 exec, s[20:21]                                   // 000000008254: BEFE0114
	global_atomic_add_f32 v6, v93, s[8:9]                      // 000000008258: DD348000 00085D06
	global_atomic_add_f32 v6, v97, s[8:9] offset:256           // 000000008260: DD348100 00086106
	s_mov_b64 exec, s[36:37]                                   // 000000008268: BEFE0124
	v_mov_b32_e32 v6, v68                                      // 00000000826C: 7E0C0344
	s_mov_b64 s[60:61], 0                                      // 000000008270: BEBC0180
	v_readlane_b32 s82, v3, 8                                  // 000000008274: D2890052 00011103
	s_and_b32 s82, s82, 0xffffff                               // 00000000827C: 8652FF52 00FFFFFF
	s_cmp_lt_u32 s82, s66                                      // 000000008284: BF0A4252
	s_cselect_b32 s20, s36, s60                                // 000000008288: 85143C24
	v_readlane_b32 s82, v3, 9                                  // 00000000828C: D2890052 00011303
	s_and_b32 s82, s82, 0xffffff                               // 000000008294: 8652FF52 00FFFFFF
	s_cmp_lt_u32 s82, s66                                      // 00000000829C: BF0A4252
	s_cselect_b32 s21, s36, s60                                // 0000000082A0: 85153C24
	s_mov_b64 exec, s[20:21]                                   // 0000000082A4: BEFE0114
	global_atomic_add_f32 v6, v100, s[8:9]                     // 0000000082A8: DD348000 00086406
	global_atomic_add_f32 v6, v104, s[8:9] offset:256          // 0000000082B0: DD348100 00086806
	s_mov_b64 exec, s[36:37]                                   // 0000000082B8: BEFE0124
	v_mov_b32_e32 v6, v69                                      // 0000000082BC: 7E0C0345
	s_mov_b64 s[60:61], 0                                      // 0000000082C0: BEBC0180
	v_readlane_b32 s82, v3, 10                                 // 0000000082C4: D2890052 00011503
	s_and_b32 s82, s82, 0xffffff                               // 0000000082CC: 8652FF52 00FFFFFF
	s_cmp_lt_u32 s82, s66                                      // 0000000082D4: BF0A4252
	s_cselect_b32 s20, s36, s60                                // 0000000082D8: 85143C24
	v_readlane_b32 s82, v3, 11                                 // 0000000082DC: D2890052 00011703
	s_and_b32 s82, s82, 0xffffff                               // 0000000082E4: 8652FF52 00FFFFFF
	s_cmp_lt_u32 s82, s66                                      // 0000000082EC: BF0A4252
	s_cselect_b32 s21, s36, s60                                // 0000000082F0: 85153C24
	s_mov_b64 exec, s[20:21]                                   // 0000000082F4: BEFE0114
	global_atomic_add_f32 v6, v101, s[8:9]                     // 0000000082F8: DD348000 00086506
	global_atomic_add_f32 v6, v105, s[8:9] offset:256          // 000000008300: DD348100 00086906
	s_mov_b64 exec, s[36:37]                                   // 000000008308: BEFE0124
	v_mov_b32_e32 v6, v70                                      // 00000000830C: 7E0C0346
	s_mov_b64 s[60:61], 0                                      // 000000008310: BEBC0180
	v_readlane_b32 s82, v3, 12                                 // 000000008314: D2890052 00011903
	s_and_b32 s82, s82, 0xffffff                               // 00000000831C: 8652FF52 00FFFFFF
	s_cmp_lt_u32 s82, s66                                      // 000000008324: BF0A4252
	s_cselect_b32 s20, s36, s60                                // 000000008328: 85143C24
	v_readlane_b32 s82, v3, 13                                 // 00000000832C: D2890052 00011B03
	s_and_b32 s82, s82, 0xffffff                               // 000000008334: 8652FF52 00FFFFFF
	s_cmp_lt_u32 s82, s66                                      // 00000000833C: BF0A4252
	s_cselect_b32 s21, s36, s60                                // 000000008340: 85153C24
	s_mov_b64 exec, s[20:21]                                   // 000000008344: BEFE0114
	global_atomic_add_f32 v6, v108, s[8:9]                     // 000000008348: DD348000 00086C06
	global_atomic_add_f32 v6, v112, s[8:9] offset:256          // 000000008350: DD348100 00087006
	s_mov_b64 exec, s[36:37]                                   // 000000008358: BEFE0124
	v_mov_b32_e32 v6, v71                                      // 00000000835C: 7E0C0347
	s_mov_b64 s[60:61], 0                                      // 000000008360: BEBC0180
	v_readlane_b32 s82, v3, 14                                 // 000000008364: D2890052 00011D03
	s_and_b32 s82, s82, 0xffffff                               // 00000000836C: 8652FF52 00FFFFFF
	s_cmp_lt_u32 s82, s66                                      // 000000008374: BF0A4252
	s_cselect_b32 s20, s36, s60                                // 000000008378: 85143C24
	v_readlane_b32 s82, v3, 15                                 // 00000000837C: D2890052 00011F03
	s_and_b32 s82, s82, 0xffffff                               // 000000008384: 8652FF52 00FFFFFF
	s_cmp_lt_u32 s82, s66                                      // 00000000838C: BF0A4252
	s_cselect_b32 s21, s36, s60                                // 000000008390: 85153C24
	s_mov_b64 exec, s[20:21]                                   // 000000008394: BEFE0114
	global_atomic_add_f32 v6, v109, s[8:9]                     // 000000008398: DD348000 00086D06
	global_atomic_add_f32 v6, v113, s[8:9] offset:256          // 0000000083A0: DD348100 00087106
	s_mov_b64 exec, s[36:37]                                   // 0000000083A8: BEFE0124
	v_mov_b32_e32 v6, v72                                      // 0000000083AC: 7E0C0348
	s_mov_b64 s[60:61], 0                                      // 0000000083B0: BEBC0180
	v_readlane_b32 s82, v3, 16                                 // 0000000083B4: D2890052 00012103
	s_and_b32 s82, s82, 0xffffff                               // 0000000083BC: 8652FF52 00FFFFFF
	s_cmp_lt_u32 s82, s66                                      // 0000000083C4: BF0A4252
	s_cselect_b32 s20, s36, s60                                // 0000000083C8: 85143C24
	v_readlane_b32 s82, v3, 17                                 // 0000000083CC: D2890052 00012303
	s_and_b32 s82, s82, 0xffffff                               // 0000000083D4: 8652FF52 00FFFFFF
	s_cmp_lt_u32 s82, s66                                      // 0000000083DC: BF0A4252
	s_cselect_b32 s21, s36, s60                                // 0000000083E0: 85153C24
	s_mov_b64 exec, s[20:21]                                   // 0000000083E4: BEFE0114
	global_atomic_add_f32 v6, v116, s[8:9]                     // 0000000083E8: DD348000 00087406
	global_atomic_add_f32 v6, v120, s[8:9] offset:256          // 0000000083F0: DD348100 00087806
	s_mov_b64 exec, s[36:37]                                   // 0000000083F8: BEFE0124
	v_mov_b32_e32 v6, v73                                      // 0000000083FC: 7E0C0349
	s_mov_b64 s[60:61], 0                                      // 000000008400: BEBC0180
	v_readlane_b32 s82, v3, 18                                 // 000000008404: D2890052 00012503
	s_and_b32 s82, s82, 0xffffff                               // 00000000840C: 8652FF52 00FFFFFF
	s_cmp_lt_u32 s82, s66                                      // 000000008414: BF0A4252
	s_cselect_b32 s20, s36, s60                                // 000000008418: 85143C24
	v_readlane_b32 s82, v3, 19                                 // 00000000841C: D2890052 00012703
	s_and_b32 s82, s82, 0xffffff                               // 000000008424: 8652FF52 00FFFFFF
	s_cmp_lt_u32 s82, s66                                      // 00000000842C: BF0A4252
	s_cselect_b32 s21, s36, s60                                // 000000008430: 85153C24
	s_mov_b64 exec, s[20:21]                                   // 000000008434: BEFE0114
	global_atomic_add_f32 v6, v117, s[8:9]                     // 000000008438: DD348000 00087506
	global_atomic_add_f32 v6, v121, s[8:9] offset:256          // 000000008440: DD348100 00087906
	s_mov_b64 exec, s[36:37]                                   // 000000008448: BEFE0124
	v_mov_b32_e32 v6, v74                                      // 00000000844C: 7E0C034A
	s_mov_b64 s[60:61], 0                                      // 000000008450: BEBC0180
	v_readlane_b32 s82, v3, 20                                 // 000000008454: D2890052 00012903
	s_and_b32 s82, s82, 0xffffff                               // 00000000845C: 8652FF52 00FFFFFF
	s_cmp_lt_u32 s82, s66                                      // 000000008464: BF0A4252
	s_cselect_b32 s20, s36, s60                                // 000000008468: 85143C24
	v_readlane_b32 s82, v3, 21                                 // 00000000846C: D2890052 00012B03
	s_and_b32 s82, s82, 0xffffff                               // 000000008474: 8652FF52 00FFFFFF
	s_cmp_lt_u32 s82, s66                                      // 00000000847C: BF0A4252
	s_cselect_b32 s21, s36, s60                                // 000000008480: 85153C24
	s_mov_b64 exec, s[20:21]                                   // 000000008484: BEFE0114
	global_atomic_add_f32 v6, v124, s[8:9]                     // 000000008488: DD348000 00087C06
	global_atomic_add_f32 v6, v128, s[8:9] offset:256          // 000000008490: DD348100 00088006
	s_mov_b64 exec, s[36:37]                                   // 000000008498: BEFE0124
	v_mov_b32_e32 v6, v75                                      // 00000000849C: 7E0C034B
	s_mov_b64 s[60:61], 0                                      // 0000000084A0: BEBC0180
	v_readlane_b32 s82, v3, 22                                 // 0000000084A4: D2890052 00012D03
	s_and_b32 s82, s82, 0xffffff                               // 0000000084AC: 8652FF52 00FFFFFF
	s_cmp_lt_u32 s82, s66                                      // 0000000084B4: BF0A4252
	s_cselect_b32 s20, s36, s60                                // 0000000084B8: 85143C24
	v_readlane_b32 s82, v3, 23                                 // 0000000084BC: D2890052 00012F03
	s_and_b32 s82, s82, 0xffffff                               // 0000000084C4: 8652FF52 00FFFFFF
	s_cmp_lt_u32 s82, s66                                      // 0000000084CC: BF0A4252
	s_cselect_b32 s21, s36, s60                                // 0000000084D0: 85153C24
	s_mov_b64 exec, s[20:21]                                   // 0000000084D4: BEFE0114
	global_atomic_add_f32 v6, v125, s[8:9]                     // 0000000084D8: DD348000 00087D06
	global_atomic_add_f32 v6, v129, s[8:9] offset:256          // 0000000084E0: DD348100 00088106
	s_mov_b64 exec, s[36:37]                                   // 0000000084E8: BEFE0124
	v_mov_b32_e32 v6, v76                                      // 0000000084EC: 7E0C034C
	s_mov_b64 s[60:61], 0                                      // 0000000084F0: BEBC0180
	v_readlane_b32 s82, v3, 24                                 // 0000000084F4: D2890052 00013103
	s_and_b32 s82, s82, 0xffffff                               // 0000000084FC: 8652FF52 00FFFFFF
	s_cmp_lt_u32 s82, s66                                      // 000000008504: BF0A4252
	s_cselect_b32 s20, s36, s60                                // 000000008508: 85143C24
	v_readlane_b32 s82, v3, 25                                 // 00000000850C: D2890052 00013303
	s_and_b32 s82, s82, 0xffffff                               // 000000008514: 8652FF52 00FFFFFF
	s_cmp_lt_u32 s82, s66                                      // 00000000851C: BF0A4252
	s_cselect_b32 s21, s36, s60                                // 000000008520: 85153C24
	s_mov_b64 exec, s[20:21]                                   // 000000008524: BEFE0114
	global_atomic_add_f32 v6, v132, s[8:9]                     // 000000008528: DD348000 00088406
	global_atomic_add_f32 v6, v136, s[8:9] offset:256          // 000000008530: DD348100 00088806
	s_mov_b64 exec, s[36:37]                                   // 000000008538: BEFE0124
	v_mov_b32_e32 v6, v77                                      // 00000000853C: 7E0C034D
	s_mov_b64 s[60:61], 0                                      // 000000008540: BEBC0180
	v_readlane_b32 s82, v3, 26                                 // 000000008544: D2890052 00013503
	s_and_b32 s82, s82, 0xffffff                               // 00000000854C: 8652FF52 00FFFFFF
	s_cmp_lt_u32 s82, s66                                      // 000000008554: BF0A4252
	s_cselect_b32 s20, s36, s60                                // 000000008558: 85143C24
	v_readlane_b32 s82, v3, 27                                 // 00000000855C: D2890052 00013703
	s_and_b32 s82, s82, 0xffffff                               // 000000008564: 8652FF52 00FFFFFF
	s_cmp_lt_u32 s82, s66                                      // 00000000856C: BF0A4252
	s_cselect_b32 s21, s36, s60                                // 000000008570: 85153C24
	s_mov_b64 exec, s[20:21]                                   // 000000008574: BEFE0114
	global_atomic_add_f32 v6, v133, s[8:9]                     // 000000008578: DD348000 00088506
	global_atomic_add_f32 v6, v137, s[8:9] offset:256          // 000000008580: DD348100 00088906
	s_mov_b64 exec, s[36:37]                                   // 000000008588: BEFE0124
	v_mov_b32_e32 v6, v78                                      // 00000000858C: 7E0C034E
	s_mov_b64 s[60:61], 0                                      // 000000008590: BEBC0180
	v_readlane_b32 s82, v3, 28                                 // 000000008594: D2890052 00013903
	s_and_b32 s82, s82, 0xffffff                               // 00000000859C: 8652FF52 00FFFFFF
	s_cmp_lt_u32 s82, s66                                      // 0000000085A4: BF0A4252
	s_cselect_b32 s20, s36, s60                                // 0000000085A8: 85143C24
	v_readlane_b32 s82, v3, 29                                 // 0000000085AC: D2890052 00013B03
	s_and_b32 s82, s82, 0xffffff                               // 0000000085B4: 8652FF52 00FFFFFF
	s_cmp_lt_u32 s82, s66                                      // 0000000085BC: BF0A4252
	s_cselect_b32 s21, s36, s60                                // 0000000085C0: 85153C24
	s_mov_b64 exec, s[20:21]                                   // 0000000085C4: BEFE0114
	global_atomic_add_f32 v6, v140, s[8:9]                     // 0000000085C8: DD348000 00088C06
	global_atomic_add_f32 v6, v144, s[8:9] offset:256          // 0000000085D0: DD348100 00089006
	s_mov_b64 exec, s[36:37]                                   // 0000000085D8: BEFE0124
	v_mov_b32_e32 v6, v79                                      // 0000000085DC: 7E0C034F
	s_mov_b64 s[60:61], 0                                      // 0000000085E0: BEBC0180
	v_readlane_b32 s82, v3, 30                                 // 0000000085E4: D2890052 00013D03
	s_and_b32 s82, s82, 0xffffff                               // 0000000085EC: 8652FF52 00FFFFFF
	s_cmp_lt_u32 s82, s66                                      // 0000000085F4: BF0A4252
	s_cselect_b32 s20, s36, s60                                // 0000000085F8: 85143C24
	v_readlane_b32 s82, v3, 31                                 // 0000000085FC: D2890052 00013F03
	s_and_b32 s82, s82, 0xffffff                               // 000000008604: 8652FF52 00FFFFFF
	s_cmp_lt_u32 s82, s66                                      // 00000000860C: BF0A4252
	s_cselect_b32 s21, s36, s60                                // 000000008610: 85153C24
	s_mov_b64 exec, s[20:21]                                   // 000000008614: BEFE0114
	global_atomic_add_f32 v6, v141, s[8:9]                     // 000000008618: DD348000 00088D06
	global_atomic_add_f32 v6, v145, s[8:9] offset:256          // 000000008620: DD348100 00089106
	s_mov_b64 exec, s[36:37]                                   // 000000008628: BEFE0124
	v_mov_b32_e32 v6, v80                                      // 00000000862C: 7E0C0350
	s_mov_b64 s[60:61], 0                                      // 000000008630: BEBC0180
	v_readlane_b32 s82, v3, 32                                 // 000000008634: D2890052 00014103
	s_and_b32 s82, s82, 0xffffff                               // 00000000863C: 8652FF52 00FFFFFF
	s_cmp_lt_u32 s82, s66                                      // 000000008644: BF0A4252
	s_cselect_b32 s20, s36, s60                                // 000000008648: 85143C24
	v_readlane_b32 s82, v3, 33                                 // 00000000864C: D2890052 00014303
	s_and_b32 s82, s82, 0xffffff                               // 000000008654: 8652FF52 00FFFFFF
	s_cmp_lt_u32 s82, s66                                      // 00000000865C: BF0A4252
	s_cselect_b32 s21, s36, s60                                // 000000008660: 85153C24
	s_mov_b64 exec, s[20:21]                                   // 000000008664: BEFE0114
	global_atomic_add_f32 v6, v148, s[8:9]                     // 000000008668: DD348000 00089406
	global_atomic_add_f32 v6, v152, s[8:9] offset:256          // 000000008670: DD348100 00089806
	s_mov_b64 exec, s[36:37]                                   // 000000008678: BEFE0124
	v_mov_b32_e32 v6, v81                                      // 00000000867C: 7E0C0351
	s_mov_b64 s[60:61], 0                                      // 000000008680: BEBC0180
	v_readlane_b32 s82, v3, 34                                 // 000000008684: D2890052 00014503
	s_and_b32 s82, s82, 0xffffff                               // 00000000868C: 8652FF52 00FFFFFF
	s_cmp_lt_u32 s82, s66                                      // 000000008694: BF0A4252
	s_cselect_b32 s20, s36, s60                                // 000000008698: 85143C24
	v_readlane_b32 s82, v3, 35                                 // 00000000869C: D2890052 00014703
	s_and_b32 s82, s82, 0xffffff                               // 0000000086A4: 8652FF52 00FFFFFF
	s_cmp_lt_u32 s82, s66                                      // 0000000086AC: BF0A4252
	s_cselect_b32 s21, s36, s60                                // 0000000086B0: 85153C24
	s_mov_b64 exec, s[20:21]                                   // 0000000086B4: BEFE0114
	global_atomic_add_f32 v6, v149, s[8:9]                     // 0000000086B8: DD348000 00089506
	global_atomic_add_f32 v6, v153, s[8:9] offset:256          // 0000000086C0: DD348100 00089906
	s_mov_b64 exec, s[36:37]                                   // 0000000086C8: BEFE0124
	ds_write_b64 v20, v[86:87]                                 // 0000000086CC: D89A0000 00005614
	ds_write_b64 v20, v[90:91] offset:4352                     // 0000000086D4: D89A1100 00005A14
	ds_write_b64 v20, v[94:95] offset:8704                     // 0000000086DC: D89A2200 00005E14
	ds_write_b64 v20, v[98:99] offset:13056                    // 0000000086E4: D89A3300 00006214
	ds_write_b64 v20, v[102:103] offset:17408                  // 0000000086EC: D89A4400 00006614
	ds_write_b64 v20, v[106:107] offset:21760                  // 0000000086F4: D89A5500 00006A14
	ds_write_b64 v20, v[110:111] offset:26112                  // 0000000086FC: D89A6600 00006E14
	ds_write_b64 v20, v[114:115] offset:30464                  // 000000008704: D89A7700 00007214
	ds_write_b64 v20, v[118:119] offset:34816                  // 00000000870C: D89A8800 00007614
	ds_write_b64 v20, v[122:123] offset:2176                   // 000000008714: D89A0880 00007A14
	ds_write_b64 v20, v[126:127] offset:6528                   // 00000000871C: D89A1980 00007E14
	ds_write_b64 v20, v[130:131] offset:10880                  // 000000008724: D89A2A80 00008214
	ds_write_b64 v20, v[134:135] offset:15232                  // 00000000872C: D89A3B80 00008614
	ds_write_b64 v20, v[138:139] offset:19584                  // 000000008734: D89A4C80 00008A14
	ds_write_b64 v20, v[142:143] offset:23936                  // 00000000873C: D89A5D80 00008E14
	ds_write_b64 v20, v[146:147] offset:28288                  // 000000008744: D89A6E80 00009214
	ds_write_b64 v20, v[150:151] offset:32640                  // 00000000874C: D89A7F80 00009614
	ds_write_b64 v20, v[154:155] offset:36992                  // 000000008754: D89A9080 00009A14
	s_waitcnt lgkmcnt(0)                                       // 00000000875C: BF8CC07F
	s_barrier                                                  // 000000008760: BF8A0000
	ds_read_b32 v86, v21                                       // 000000008764: D86C0000 56000015
	ds_read_b32 v87, v21 offset:64                             // 00000000876C: D86C0040 57000015
	ds_read_b32 v90, v21 offset:2176                           // 000000008774: D86C0880 5A000015
	ds_read_b32 v91, v21 offset:2240                           // 00000000877C: D86C08C0 5B000015
	ds_read_b32 v94, v21 offset:4352                           // 000000008784: D86C1100 5E000015
	ds_read_b32 v95, v21 offset:4416                           // 00000000878C: D86C1140 5F000015
	ds_read_b32 v98, v21 offset:6528                           // 000000008794: D86C1980 62000015
	ds_read_b32 v99, v21 offset:6592                           // 00000000879C: D86C19C0 63000015
	ds_read_b32 v102, v21 offset:8704                          // 0000000087A4: D86C2200 66000015
	ds_read_b32 v103, v21 offset:8768                          // 0000000087AC: D86C2240 67000015
	ds_read_b32 v106, v21 offset:10880                         // 0000000087B4: D86C2A80 6A000015
	ds_read_b32 v107, v21 offset:10944                         // 0000000087BC: D86C2AC0 6B000015
	ds_read_b32 v110, v21 offset:13056                         // 0000000087C4: D86C3300 6E000015
	ds_read_b32 v111, v21 offset:13120                         // 0000000087CC: D86C3340 6F000015
	ds_read_b32 v114, v21 offset:15232                         // 0000000087D4: D86C3B80 72000015
	ds_read_b32 v115, v21 offset:15296                         // 0000000087DC: D86C3BC0 73000015
	ds_read_b32 v118, v21 offset:17408                         // 0000000087E4: D86C4400 76000015
	ds_read_b32 v119, v21 offset:17472                         // 0000000087EC: D86C4440 77000015
	ds_read_b32 v122, v21 offset:19584                         // 0000000087F4: D86C4C80 7A000015
	ds_read_b32 v123, v21 offset:19648                         // 0000000087FC: D86C4CC0 7B000015
	ds_read_b32 v126, v21 offset:21760                         // 000000008804: D86C5500 7E000015
	ds_read_b32 v127, v21 offset:21824                         // 00000000880C: D86C5540 7F000015
	ds_read_b32 v130, v21 offset:23936                         // 000000008814: D86C5D80 82000015
	ds_read_b32 v131, v21 offset:24000                         // 00000000881C: D86C5DC0 83000015
	ds_read_b32 v134, v21 offset:26112                         // 000000008824: D86C6600 86000015
	ds_read_b32 v135, v21 offset:26176                         // 00000000882C: D86C6640 87000015
	ds_read_b32 v138, v21 offset:28288                         // 000000008834: D86C6E80 8A000015
	ds_read_b32 v139, v21 offset:28352                         // 00000000883C: D86C6EC0 8B000015
	ds_read_b32 v142, v21 offset:30464                         // 000000008844: D86C7700 8E000015
	ds_read_b32 v143, v21 offset:30528                         // 00000000884C: D86C7740 8F000015
	ds_read_b32 v146, v21 offset:32640                         // 000000008854: D86C7F80 92000015
	ds_read_b32 v147, v21 offset:32704                         // 00000000885C: D86C7FC0 93000015
	ds_read_b32 v150, v21 offset:34816                         // 000000008864: D86C8800 96000015
	ds_read_b32 v151, v21 offset:34880                         // 00000000886C: D86C8840 97000015
	ds_read_b32 v154, v21 offset:36992                         // 000000008874: D86C9080 9A000015
	ds_read_b32 v155, v21 offset:37056                         // 00000000887C: D86C90C0 9B000015
	s_waitcnt lgkmcnt(0)                                       // 000000008884: BF8CC07F
	v_mov_b32_e32 v7, 0                                        // 000000008888: 7E0E0280
	s_mov_b64 exec, s[36:37]                                   // 00000000888C: BEFE0124
	v_mov_b32_e32 v6, v64                                      // 000000008890: 7E0C0340
	s_mov_b64 s[60:61], 0                                      // 000000008894: BEBC0180
	v_readlane_b32 s82, v3, 0                                  // 000000008898: D2890052 00010103
	s_and_b32 s82, s82, 0xffffff                               // 0000000088A0: 8652FF52 00FFFFFF
	s_cmp_lt_u32 s82, s66                                      // 0000000088A8: BF0A4252
	s_cselect_b32 s20, s36, s60                                // 0000000088AC: 85143C24
	v_readlane_b32 s82, v3, 1                                  // 0000000088B0: D2890052 00010303
	s_and_b32 s82, s82, 0xffffff                               // 0000000088B8: 8652FF52 00FFFFFF
	s_cmp_lt_u32 s82, s66                                      // 0000000088C0: BF0A4252
	s_cselect_b32 s21, s36, s60                                // 0000000088C4: 85153C24
	s_mov_b64 exec, s[20:21]                                   // 0000000088C8: BEFE0114
	global_atomic_add_f32 v6, v86, s[8:9] offset:8             // 0000000088CC: DD348008 00085606
	global_atomic_add_f32 v6, v90, s[8:9] offset:264           // 0000000088D4: DD348108 00085A06
	s_mov_b64 exec, s[36:37]                                   // 0000000088DC: BEFE0124
	v_mov_b32_e32 v6, v65                                      // 0000000088E0: 7E0C0341
	s_mov_b64 s[60:61], 0                                      // 0000000088E4: BEBC0180
	v_readlane_b32 s82, v3, 2                                  // 0000000088E8: D2890052 00010503
	s_and_b32 s82, s82, 0xffffff                               // 0000000088F0: 8652FF52 00FFFFFF
	s_cmp_lt_u32 s82, s66                                      // 0000000088F8: BF0A4252
	s_cselect_b32 s20, s36, s60                                // 0000000088FC: 85143C24
	v_readlane_b32 s82, v3, 3                                  // 000000008900: D2890052 00010703
	s_and_b32 s82, s82, 0xffffff                               // 000000008908: 8652FF52 00FFFFFF
	s_cmp_lt_u32 s82, s66                                      // 000000008910: BF0A4252
	s_cselect_b32 s21, s36, s60                                // 000000008914: 85153C24
	s_mov_b64 exec, s[20:21]                                   // 000000008918: BEFE0114
	global_atomic_add_f32 v6, v87, s[8:9] offset:8             // 00000000891C: DD348008 00085706
	global_atomic_add_f32 v6, v91, s[8:9] offset:264           // 000000008924: DD348108 00085B06
	s_mov_b64 exec, s[36:37]                                   // 00000000892C: BEFE0124
	v_mov_b32_e32 v6, v66                                      // 000000008930: 7E0C0342
	s_mov_b64 s[60:61], 0                                      // 000000008934: BEBC0180
	v_readlane_b32 s82, v3, 4                                  // 000000008938: D2890052 00010903
	s_and_b32 s82, s82, 0xffffff                               // 000000008940: 8652FF52 00FFFFFF
	s_cmp_lt_u32 s82, s66                                      // 000000008948: BF0A4252
	s_cselect_b32 s20, s36, s60                                // 00000000894C: 85143C24
	v_readlane_b32 s82, v3, 5                                  // 000000008950: D2890052 00010B03
	s_and_b32 s82, s82, 0xffffff                               // 000000008958: 8652FF52 00FFFFFF
	s_cmp_lt_u32 s82, s66                                      // 000000008960: BF0A4252
	s_cselect_b32 s21, s36, s60                                // 000000008964: 85153C24
	s_mov_b64 exec, s[20:21]                                   // 000000008968: BEFE0114
	global_atomic_add_f32 v6, v94, s[8:9] offset:8             // 00000000896C: DD348008 00085E06
	global_atomic_add_f32 v6, v98, s[8:9] offset:264           // 000000008974: DD348108 00086206
	s_mov_b64 exec, s[36:37]                                   // 00000000897C: BEFE0124
	v_mov_b32_e32 v6, v67                                      // 000000008980: 7E0C0343
	s_mov_b64 s[60:61], 0                                      // 000000008984: BEBC0180
	v_readlane_b32 s82, v3, 6                                  // 000000008988: D2890052 00010D03
	s_and_b32 s82, s82, 0xffffff                               // 000000008990: 8652FF52 00FFFFFF
	s_cmp_lt_u32 s82, s66                                      // 000000008998: BF0A4252
	s_cselect_b32 s20, s36, s60                                // 00000000899C: 85143C24
	v_readlane_b32 s82, v3, 7                                  // 0000000089A0: D2890052 00010F03
	s_and_b32 s82, s82, 0xffffff                               // 0000000089A8: 8652FF52 00FFFFFF
	s_cmp_lt_u32 s82, s66                                      // 0000000089B0: BF0A4252
	s_cselect_b32 s21, s36, s60                                // 0000000089B4: 85153C24
	s_mov_b64 exec, s[20:21]                                   // 0000000089B8: BEFE0114
	global_atomic_add_f32 v6, v95, s[8:9] offset:8             // 0000000089BC: DD348008 00085F06
	global_atomic_add_f32 v6, v99, s[8:9] offset:264           // 0000000089C4: DD348108 00086306
	s_mov_b64 exec, s[36:37]                                   // 0000000089CC: BEFE0124
	v_mov_b32_e32 v6, v68                                      // 0000000089D0: 7E0C0344
	s_mov_b64 s[60:61], 0                                      // 0000000089D4: BEBC0180
	v_readlane_b32 s82, v3, 8                                  // 0000000089D8: D2890052 00011103
	s_and_b32 s82, s82, 0xffffff                               // 0000000089E0: 8652FF52 00FFFFFF
	s_cmp_lt_u32 s82, s66                                      // 0000000089E8: BF0A4252
	s_cselect_b32 s20, s36, s60                                // 0000000089EC: 85143C24
	v_readlane_b32 s82, v3, 9                                  // 0000000089F0: D2890052 00011303
	s_and_b32 s82, s82, 0xffffff                               // 0000000089F8: 8652FF52 00FFFFFF
	s_cmp_lt_u32 s82, s66                                      // 000000008A00: BF0A4252
	s_cselect_b32 s21, s36, s60                                // 000000008A04: 85153C24
	s_mov_b64 exec, s[20:21]                                   // 000000008A08: BEFE0114
	global_atomic_add_f32 v6, v102, s[8:9] offset:8            // 000000008A0C: DD348008 00086606
	global_atomic_add_f32 v6, v106, s[8:9] offset:264          // 000000008A14: DD348108 00086A06
	s_mov_b64 exec, s[36:37]                                   // 000000008A1C: BEFE0124
	v_mov_b32_e32 v6, v69                                      // 000000008A20: 7E0C0345
	s_mov_b64 s[60:61], 0                                      // 000000008A24: BEBC0180
	v_readlane_b32 s82, v3, 10                                 // 000000008A28: D2890052 00011503
	s_and_b32 s82, s82, 0xffffff                               // 000000008A30: 8652FF52 00FFFFFF
	s_cmp_lt_u32 s82, s66                                      // 000000008A38: BF0A4252
	s_cselect_b32 s20, s36, s60                                // 000000008A3C: 85143C24
	v_readlane_b32 s82, v3, 11                                 // 000000008A40: D2890052 00011703
	s_and_b32 s82, s82, 0xffffff                               // 000000008A48: 8652FF52 00FFFFFF
	s_cmp_lt_u32 s82, s66                                      // 000000008A50: BF0A4252
	s_cselect_b32 s21, s36, s60                                // 000000008A54: 85153C24
	s_mov_b64 exec, s[20:21]                                   // 000000008A58: BEFE0114
	global_atomic_add_f32 v6, v103, s[8:9] offset:8            // 000000008A5C: DD348008 00086706
	global_atomic_add_f32 v6, v107, s[8:9] offset:264          // 000000008A64: DD348108 00086B06
	s_mov_b64 exec, s[36:37]                                   // 000000008A6C: BEFE0124
	v_mov_b32_e32 v6, v70                                      // 000000008A70: 7E0C0346
	s_mov_b64 s[60:61], 0                                      // 000000008A74: BEBC0180
	v_readlane_b32 s82, v3, 12                                 // 000000008A78: D2890052 00011903
	s_and_b32 s82, s82, 0xffffff                               // 000000008A80: 8652FF52 00FFFFFF
	s_cmp_lt_u32 s82, s66                                      // 000000008A88: BF0A4252
	s_cselect_b32 s20, s36, s60                                // 000000008A8C: 85143C24
	v_readlane_b32 s82, v3, 13                                 // 000000008A90: D2890052 00011B03
	s_and_b32 s82, s82, 0xffffff                               // 000000008A98: 8652FF52 00FFFFFF
	s_cmp_lt_u32 s82, s66                                      // 000000008AA0: BF0A4252
	s_cselect_b32 s21, s36, s60                                // 000000008AA4: 85153C24
	s_mov_b64 exec, s[20:21]                                   // 000000008AA8: BEFE0114
	global_atomic_add_f32 v6, v110, s[8:9] offset:8            // 000000008AAC: DD348008 00086E06
	global_atomic_add_f32 v6, v114, s[8:9] offset:264          // 000000008AB4: DD348108 00087206
	s_mov_b64 exec, s[36:37]                                   // 000000008ABC: BEFE0124
	v_mov_b32_e32 v6, v71                                      // 000000008AC0: 7E0C0347
	s_mov_b64 s[60:61], 0                                      // 000000008AC4: BEBC0180
	v_readlane_b32 s82, v3, 14                                 // 000000008AC8: D2890052 00011D03
	s_and_b32 s82, s82, 0xffffff                               // 000000008AD0: 8652FF52 00FFFFFF
	s_cmp_lt_u32 s82, s66                                      // 000000008AD8: BF0A4252
	s_cselect_b32 s20, s36, s60                                // 000000008ADC: 85143C24
	v_readlane_b32 s82, v3, 15                                 // 000000008AE0: D2890052 00011F03
	s_and_b32 s82, s82, 0xffffff                               // 000000008AE8: 8652FF52 00FFFFFF
	s_cmp_lt_u32 s82, s66                                      // 000000008AF0: BF0A4252
	s_cselect_b32 s21, s36, s60                                // 000000008AF4: 85153C24
	s_mov_b64 exec, s[20:21]                                   // 000000008AF8: BEFE0114
	global_atomic_add_f32 v6, v111, s[8:9] offset:8            // 000000008AFC: DD348008 00086F06
	global_atomic_add_f32 v6, v115, s[8:9] offset:264          // 000000008B04: DD348108 00087306
	s_mov_b64 exec, s[36:37]                                   // 000000008B0C: BEFE0124
	v_mov_b32_e32 v6, v72                                      // 000000008B10: 7E0C0348
	s_mov_b64 s[60:61], 0                                      // 000000008B14: BEBC0180
	v_readlane_b32 s82, v3, 16                                 // 000000008B18: D2890052 00012103
	s_and_b32 s82, s82, 0xffffff                               // 000000008B20: 8652FF52 00FFFFFF
	s_cmp_lt_u32 s82, s66                                      // 000000008B28: BF0A4252
	s_cselect_b32 s20, s36, s60                                // 000000008B2C: 85143C24
	v_readlane_b32 s82, v3, 17                                 // 000000008B30: D2890052 00012303
	s_and_b32 s82, s82, 0xffffff                               // 000000008B38: 8652FF52 00FFFFFF
	s_cmp_lt_u32 s82, s66                                      // 000000008B40: BF0A4252
	s_cselect_b32 s21, s36, s60                                // 000000008B44: 85153C24
	s_mov_b64 exec, s[20:21]                                   // 000000008B48: BEFE0114
	global_atomic_add_f32 v6, v118, s[8:9] offset:8            // 000000008B4C: DD348008 00087606
	global_atomic_add_f32 v6, v122, s[8:9] offset:264          // 000000008B54: DD348108 00087A06
	s_mov_b64 exec, s[36:37]                                   // 000000008B5C: BEFE0124
	v_mov_b32_e32 v6, v73                                      // 000000008B60: 7E0C0349
	s_mov_b64 s[60:61], 0                                      // 000000008B64: BEBC0180
	v_readlane_b32 s82, v3, 18                                 // 000000008B68: D2890052 00012503
	s_and_b32 s82, s82, 0xffffff                               // 000000008B70: 8652FF52 00FFFFFF
	s_cmp_lt_u32 s82, s66                                      // 000000008B78: BF0A4252
	s_cselect_b32 s20, s36, s60                                // 000000008B7C: 85143C24
	v_readlane_b32 s82, v3, 19                                 // 000000008B80: D2890052 00012703
	s_and_b32 s82, s82, 0xffffff                               // 000000008B88: 8652FF52 00FFFFFF
	s_cmp_lt_u32 s82, s66                                      // 000000008B90: BF0A4252
	s_cselect_b32 s21, s36, s60                                // 000000008B94: 85153C24
	s_mov_b64 exec, s[20:21]                                   // 000000008B98: BEFE0114
	global_atomic_add_f32 v6, v119, s[8:9] offset:8            // 000000008B9C: DD348008 00087706
	global_atomic_add_f32 v6, v123, s[8:9] offset:264          // 000000008BA4: DD348108 00087B06
	s_mov_b64 exec, s[36:37]                                   // 000000008BAC: BEFE0124
	v_mov_b32_e32 v6, v74                                      // 000000008BB0: 7E0C034A
	s_mov_b64 s[60:61], 0                                      // 000000008BB4: BEBC0180
	v_readlane_b32 s82, v3, 20                                 // 000000008BB8: D2890052 00012903
	s_and_b32 s82, s82, 0xffffff                               // 000000008BC0: 8652FF52 00FFFFFF
	s_cmp_lt_u32 s82, s66                                      // 000000008BC8: BF0A4252
	s_cselect_b32 s20, s36, s60                                // 000000008BCC: 85143C24
	v_readlane_b32 s82, v3, 21                                 // 000000008BD0: D2890052 00012B03
	s_and_b32 s82, s82, 0xffffff                               // 000000008BD8: 8652FF52 00FFFFFF
	s_cmp_lt_u32 s82, s66                                      // 000000008BE0: BF0A4252
	s_cselect_b32 s21, s36, s60                                // 000000008BE4: 85153C24
	s_mov_b64 exec, s[20:21]                                   // 000000008BE8: BEFE0114
	global_atomic_add_f32 v6, v126, s[8:9] offset:8            // 000000008BEC: DD348008 00087E06
	global_atomic_add_f32 v6, v130, s[8:9] offset:264          // 000000008BF4: DD348108 00088206
	s_mov_b64 exec, s[36:37]                                   // 000000008BFC: BEFE0124
	v_mov_b32_e32 v6, v75                                      // 000000008C00: 7E0C034B
	s_mov_b64 s[60:61], 0                                      // 000000008C04: BEBC0180
	v_readlane_b32 s82, v3, 22                                 // 000000008C08: D2890052 00012D03
	s_and_b32 s82, s82, 0xffffff                               // 000000008C10: 8652FF52 00FFFFFF
	s_cmp_lt_u32 s82, s66                                      // 000000008C18: BF0A4252
	s_cselect_b32 s20, s36, s60                                // 000000008C1C: 85143C24
	v_readlane_b32 s82, v3, 23                                 // 000000008C20: D2890052 00012F03
	s_and_b32 s82, s82, 0xffffff                               // 000000008C28: 8652FF52 00FFFFFF
	s_cmp_lt_u32 s82, s66                                      // 000000008C30: BF0A4252
	s_cselect_b32 s21, s36, s60                                // 000000008C34: 85153C24
	s_mov_b64 exec, s[20:21]                                   // 000000008C38: BEFE0114
	global_atomic_add_f32 v6, v127, s[8:9] offset:8            // 000000008C3C: DD348008 00087F06
	global_atomic_add_f32 v6, v131, s[8:9] offset:264          // 000000008C44: DD348108 00088306
	s_mov_b64 exec, s[36:37]                                   // 000000008C4C: BEFE0124
	v_mov_b32_e32 v6, v76                                      // 000000008C50: 7E0C034C
	s_mov_b64 s[60:61], 0                                      // 000000008C54: BEBC0180
	v_readlane_b32 s82, v3, 24                                 // 000000008C58: D2890052 00013103
	s_and_b32 s82, s82, 0xffffff                               // 000000008C60: 8652FF52 00FFFFFF
	s_cmp_lt_u32 s82, s66                                      // 000000008C68: BF0A4252
	s_cselect_b32 s20, s36, s60                                // 000000008C6C: 85143C24
	v_readlane_b32 s82, v3, 25                                 // 000000008C70: D2890052 00013303
	s_and_b32 s82, s82, 0xffffff                               // 000000008C78: 8652FF52 00FFFFFF
	s_cmp_lt_u32 s82, s66                                      // 000000008C80: BF0A4252
	s_cselect_b32 s21, s36, s60                                // 000000008C84: 85153C24
	s_mov_b64 exec, s[20:21]                                   // 000000008C88: BEFE0114
	global_atomic_add_f32 v6, v134, s[8:9] offset:8            // 000000008C8C: DD348008 00088606
	global_atomic_add_f32 v6, v138, s[8:9] offset:264          // 000000008C94: DD348108 00088A06
	s_mov_b64 exec, s[36:37]                                   // 000000008C9C: BEFE0124
	v_mov_b32_e32 v6, v77                                      // 000000008CA0: 7E0C034D
	s_mov_b64 s[60:61], 0                                      // 000000008CA4: BEBC0180
	v_readlane_b32 s82, v3, 26                                 // 000000008CA8: D2890052 00013503
	s_and_b32 s82, s82, 0xffffff                               // 000000008CB0: 8652FF52 00FFFFFF
	s_cmp_lt_u32 s82, s66                                      // 000000008CB8: BF0A4252
	s_cselect_b32 s20, s36, s60                                // 000000008CBC: 85143C24
	v_readlane_b32 s82, v3, 27                                 // 000000008CC0: D2890052 00013703
	s_and_b32 s82, s82, 0xffffff                               // 000000008CC8: 8652FF52 00FFFFFF
	s_cmp_lt_u32 s82, s66                                      // 000000008CD0: BF0A4252
	s_cselect_b32 s21, s36, s60                                // 000000008CD4: 85153C24
	s_mov_b64 exec, s[20:21]                                   // 000000008CD8: BEFE0114
	global_atomic_add_f32 v6, v135, s[8:9] offset:8            // 000000008CDC: DD348008 00088706
	global_atomic_add_f32 v6, v139, s[8:9] offset:264          // 000000008CE4: DD348108 00088B06
	s_mov_b64 exec, s[36:37]                                   // 000000008CEC: BEFE0124
	v_mov_b32_e32 v6, v78                                      // 000000008CF0: 7E0C034E
	s_mov_b64 s[60:61], 0                                      // 000000008CF4: BEBC0180
	v_readlane_b32 s82, v3, 28                                 // 000000008CF8: D2890052 00013903
	s_and_b32 s82, s82, 0xffffff                               // 000000008D00: 8652FF52 00FFFFFF
	s_cmp_lt_u32 s82, s66                                      // 000000008D08: BF0A4252
	s_cselect_b32 s20, s36, s60                                // 000000008D0C: 85143C24
	v_readlane_b32 s82, v3, 29                                 // 000000008D10: D2890052 00013B03
	s_and_b32 s82, s82, 0xffffff                               // 000000008D18: 8652FF52 00FFFFFF
	s_cmp_lt_u32 s82, s66                                      // 000000008D20: BF0A4252
	s_cselect_b32 s21, s36, s60                                // 000000008D24: 85153C24
	s_mov_b64 exec, s[20:21]                                   // 000000008D28: BEFE0114
	global_atomic_add_f32 v6, v142, s[8:9] offset:8            // 000000008D2C: DD348008 00088E06
	global_atomic_add_f32 v6, v146, s[8:9] offset:264          // 000000008D34: DD348108 00089206
	s_mov_b64 exec, s[36:37]                                   // 000000008D3C: BEFE0124
	v_mov_b32_e32 v6, v79                                      // 000000008D40: 7E0C034F
	s_mov_b64 s[60:61], 0                                      // 000000008D44: BEBC0180
	v_readlane_b32 s82, v3, 30                                 // 000000008D48: D2890052 00013D03
	s_and_b32 s82, s82, 0xffffff                               // 000000008D50: 8652FF52 00FFFFFF
	s_cmp_lt_u32 s82, s66                                      // 000000008D58: BF0A4252
	s_cselect_b32 s20, s36, s60                                // 000000008D5C: 85143C24
	v_readlane_b32 s82, v3, 31                                 // 000000008D60: D2890052 00013F03
	s_and_b32 s82, s82, 0xffffff                               // 000000008D68: 8652FF52 00FFFFFF
	s_cmp_lt_u32 s82, s66                                      // 000000008D70: BF0A4252
	s_cselect_b32 s21, s36, s60                                // 000000008D74: 85153C24
	s_mov_b64 exec, s[20:21]                                   // 000000008D78: BEFE0114
	global_atomic_add_f32 v6, v143, s[8:9] offset:8            // 000000008D7C: DD348008 00088F06
	global_atomic_add_f32 v6, v147, s[8:9] offset:264          // 000000008D84: DD348108 00089306
	s_mov_b64 exec, s[36:37]                                   // 000000008D8C: BEFE0124
	v_mov_b32_e32 v6, v80                                      // 000000008D90: 7E0C0350
	s_mov_b64 s[60:61], 0                                      // 000000008D94: BEBC0180
	v_readlane_b32 s82, v3, 32                                 // 000000008D98: D2890052 00014103
	s_and_b32 s82, s82, 0xffffff                               // 000000008DA0: 8652FF52 00FFFFFF
	s_cmp_lt_u32 s82, s66                                      // 000000008DA8: BF0A4252
	s_cselect_b32 s20, s36, s60                                // 000000008DAC: 85143C24
	v_readlane_b32 s82, v3, 33                                 // 000000008DB0: D2890052 00014303
	s_and_b32 s82, s82, 0xffffff                               // 000000008DB8: 8652FF52 00FFFFFF
	s_cmp_lt_u32 s82, s66                                      // 000000008DC0: BF0A4252
	s_cselect_b32 s21, s36, s60                                // 000000008DC4: 85153C24
	s_mov_b64 exec, s[20:21]                                   // 000000008DC8: BEFE0114
	global_atomic_add_f32 v6, v150, s[8:9] offset:8            // 000000008DCC: DD348008 00089606
	global_atomic_add_f32 v6, v154, s[8:9] offset:264          // 000000008DD4: DD348108 00089A06
	s_mov_b64 exec, s[36:37]                                   // 000000008DDC: BEFE0124
	v_mov_b32_e32 v6, v81                                      // 000000008DE0: 7E0C0351
	s_mov_b64 s[60:61], 0                                      // 000000008DE4: BEBC0180
	v_readlane_b32 s82, v3, 34                                 // 000000008DE8: D2890052 00014503
	s_and_b32 s82, s82, 0xffffff                               // 000000008DF0: 8652FF52 00FFFFFF
	s_cmp_lt_u32 s82, s66                                      // 000000008DF8: BF0A4252
	s_cselect_b32 s20, s36, s60                                // 000000008DFC: 85143C24
	v_readlane_b32 s82, v3, 35                                 // 000000008E00: D2890052 00014703
	s_and_b32 s82, s82, 0xffffff                               // 000000008E08: 8652FF52 00FFFFFF
	s_cmp_lt_u32 s82, s66                                      // 000000008E10: BF0A4252
	s_cselect_b32 s21, s36, s60                                // 000000008E14: 85153C24
	s_mov_b64 exec, s[20:21]                                   // 000000008E18: BEFE0114
	global_atomic_add_f32 v6, v151, s[8:9] offset:8            // 000000008E1C: DD348008 00089706
	global_atomic_add_f32 v6, v155, s[8:9] offset:264          // 000000008E24: DD348108 00089B06
	s_mov_b64 exec, s[36:37]                                   // 000000008E2C: BEFE0124
	ds_write_b64 v20, v[156:157]                               // 000000008E30: D89A0000 00009C14
	ds_write_b64 v20, v[160:161] offset:4352                   // 000000008E38: D89A1100 0000A014
	ds_write_b64 v20, v[164:165] offset:8704                   // 000000008E40: D89A2200 0000A414
	ds_write_b64 v20, v[168:169] offset:13056                  // 000000008E48: D89A3300 0000A814
	ds_write_b64 v20, v[172:173] offset:17408                  // 000000008E50: D89A4400 0000AC14
	ds_write_b64 v20, v[176:177] offset:21760                  // 000000008E58: D89A5500 0000B014
	ds_write_b64 v20, v[180:181] offset:26112                  // 000000008E60: D89A6600 0000B414
	ds_write_b64 v20, v[184:185] offset:30464                  // 000000008E68: D89A7700 0000B814
	ds_write_b64 v20, v[188:189] offset:34816                  // 000000008E70: D89A8800 0000BC14
	ds_write_b64 v20, v[192:193] offset:2176                   // 000000008E78: D89A0880 0000C014
	ds_write_b64 v20, v[196:197] offset:6528                   // 000000008E80: D89A1980 0000C414
	ds_write_b64 v20, v[200:201] offset:10880                  // 000000008E88: D89A2A80 0000C814
	ds_write_b64 v20, v[204:205] offset:15232                  // 000000008E90: D89A3B80 0000CC14
	ds_write_b64 v20, v[208:209] offset:19584                  // 000000008E98: D89A4C80 0000D014
	ds_write_b64 v20, v[212:213] offset:23936                  // 000000008EA0: D89A5D80 0000D414
	ds_write_b64 v20, v[216:217] offset:28288                  // 000000008EA8: D89A6E80 0000D814
	ds_write_b64 v20, v[220:221] offset:32640                  // 000000008EB0: D89A7F80 0000DC14
	ds_write_b64 v20, v[224:225] offset:36992                  // 000000008EB8: D89A9080 0000E014
	s_waitcnt lgkmcnt(0)                                       // 000000008EC0: BF8CC07F
	s_barrier                                                  // 000000008EC4: BF8A0000
	ds_read_b32 v156, v21                                      // 000000008EC8: D86C0000 9C000015
	ds_read_b32 v157, v21 offset:64                            // 000000008ED0: D86C0040 9D000015
	ds_read_b32 v160, v21 offset:2176                          // 000000008ED8: D86C0880 A0000015
	ds_read_b32 v161, v21 offset:2240                          // 000000008EE0: D86C08C0 A1000015
	ds_read_b32 v164, v21 offset:4352                          // 000000008EE8: D86C1100 A4000015
	ds_read_b32 v165, v21 offset:4416                          // 000000008EF0: D86C1140 A5000015
	ds_read_b32 v168, v21 offset:6528                          // 000000008EF8: D86C1980 A8000015
	ds_read_b32 v169, v21 offset:6592                          // 000000008F00: D86C19C0 A9000015
	ds_read_b32 v172, v21 offset:8704                          // 000000008F08: D86C2200 AC000015
	ds_read_b32 v173, v21 offset:8768                          // 000000008F10: D86C2240 AD000015
	ds_read_b32 v176, v21 offset:10880                         // 000000008F18: D86C2A80 B0000015
	ds_read_b32 v177, v21 offset:10944                         // 000000008F20: D86C2AC0 B1000015
	ds_read_b32 v180, v21 offset:13056                         // 000000008F28: D86C3300 B4000015
	ds_read_b32 v181, v21 offset:13120                         // 000000008F30: D86C3340 B5000015
	ds_read_b32 v184, v21 offset:15232                         // 000000008F38: D86C3B80 B8000015
	ds_read_b32 v185, v21 offset:15296                         // 000000008F40: D86C3BC0 B9000015
	ds_read_b32 v188, v21 offset:17408                         // 000000008F48: D86C4400 BC000015
	ds_read_b32 v189, v21 offset:17472                         // 000000008F50: D86C4440 BD000015
	ds_read_b32 v192, v21 offset:19584                         // 000000008F58: D86C4C80 C0000015
	ds_read_b32 v193, v21 offset:19648                         // 000000008F60: D86C4CC0 C1000015
	ds_read_b32 v196, v21 offset:21760                         // 000000008F68: D86C5500 C4000015
	ds_read_b32 v197, v21 offset:21824                         // 000000008F70: D86C5540 C5000015
	ds_read_b32 v200, v21 offset:23936                         // 000000008F78: D86C5D80 C8000015
	ds_read_b32 v201, v21 offset:24000                         // 000000008F80: D86C5DC0 C9000015
	ds_read_b32 v204, v21 offset:26112                         // 000000008F88: D86C6600 CC000015
	ds_read_b32 v205, v21 offset:26176                         // 000000008F90: D86C6640 CD000015
	ds_read_b32 v208, v21 offset:28288                         // 000000008F98: D86C6E80 D0000015
	ds_read_b32 v209, v21 offset:28352                         // 000000008FA0: D86C6EC0 D1000015
	ds_read_b32 v212, v21 offset:30464                         // 000000008FA8: D86C7700 D4000015
	ds_read_b32 v213, v21 offset:30528                         // 000000008FB0: D86C7740 D5000015
	ds_read_b32 v216, v21 offset:32640                         // 000000008FB8: D86C7F80 D8000015
	ds_read_b32 v217, v21 offset:32704                         // 000000008FC0: D86C7FC0 D9000015
	ds_read_b32 v220, v21 offset:34816                         // 000000008FC8: D86C8800 DC000015
	ds_read_b32 v221, v21 offset:34880                         // 000000008FD0: D86C8840 DD000015
	ds_read_b32 v224, v21 offset:36992                         // 000000008FD8: D86C9080 E0000015
	ds_read_b32 v225, v21 offset:37056                         // 000000008FE0: D86C90C0 E1000015
	s_mul_i32 s60, s65, 4                                      // 000000008FE8: 923C8441
	s_add_u32 s8, s60, s8                                      // 000000008FEC: 8008083C
	s_addc_u32 s9, 0, s9                                       // 000000008FF0: 82090980
	s_waitcnt lgkmcnt(0)                                       // 000000008FF4: BF8CC07F
	v_mov_b32_e32 v7, 0                                        // 000000008FF8: 7E0E0280
	s_mov_b64 exec, s[36:37]                                   // 000000008FFC: BEFE0124
	v_mov_b32_e32 v6, v64                                      // 000000009000: 7E0C0340
	s_mov_b64 s[60:61], 0                                      // 000000009004: BEBC0180
	v_readlane_b32 s82, v3, 0                                  // 000000009008: D2890052 00010103
	s_and_b32 s82, s82, 0xffffff                               // 000000009010: 8652FF52 00FFFFFF
	s_cmp_lt_u32 s82, s66                                      // 000000009018: BF0A4252
	s_cselect_b32 s20, s36, s60                                // 00000000901C: 85143C24
	v_readlane_b32 s82, v3, 1                                  // 000000009020: D2890052 00010303
	s_and_b32 s82, s82, 0xffffff                               // 000000009028: 8652FF52 00FFFFFF
	s_cmp_lt_u32 s82, s66                                      // 000000009030: BF0A4252
	s_cselect_b32 s21, s36, s60                                // 000000009034: 85153C24
	s_mov_b64 exec, s[20:21]                                   // 000000009038: BEFE0114
	global_atomic_add_f32 v6, v156, s[8:9]                     // 00000000903C: DD348000 00089C06
	global_atomic_add_f32 v6, v160, s[8:9] offset:256          // 000000009044: DD348100 0008A006
	s_mov_b64 exec, s[36:37]                                   // 00000000904C: BEFE0124
	v_mov_b32_e32 v6, v65                                      // 000000009050: 7E0C0341
	s_mov_b64 s[60:61], 0                                      // 000000009054: BEBC0180
	v_readlane_b32 s82, v3, 2                                  // 000000009058: D2890052 00010503
	s_and_b32 s82, s82, 0xffffff                               // 000000009060: 8652FF52 00FFFFFF
	s_cmp_lt_u32 s82, s66                                      // 000000009068: BF0A4252
	s_cselect_b32 s20, s36, s60                                // 00000000906C: 85143C24
	v_readlane_b32 s82, v3, 3                                  // 000000009070: D2890052 00010703
	s_and_b32 s82, s82, 0xffffff                               // 000000009078: 8652FF52 00FFFFFF
	s_cmp_lt_u32 s82, s66                                      // 000000009080: BF0A4252
	s_cselect_b32 s21, s36, s60                                // 000000009084: 85153C24
	s_mov_b64 exec, s[20:21]                                   // 000000009088: BEFE0114
	global_atomic_add_f32 v6, v157, s[8:9]                     // 00000000908C: DD348000 00089D06
	global_atomic_add_f32 v6, v161, s[8:9] offset:256          // 000000009094: DD348100 0008A106
	s_mov_b64 exec, s[36:37]                                   // 00000000909C: BEFE0124
	v_mov_b32_e32 v6, v66                                      // 0000000090A0: 7E0C0342
	s_mov_b64 s[60:61], 0                                      // 0000000090A4: BEBC0180
	v_readlane_b32 s82, v3, 4                                  // 0000000090A8: D2890052 00010903
	s_and_b32 s82, s82, 0xffffff                               // 0000000090B0: 8652FF52 00FFFFFF
	s_cmp_lt_u32 s82, s66                                      // 0000000090B8: BF0A4252
	s_cselect_b32 s20, s36, s60                                // 0000000090BC: 85143C24
	v_readlane_b32 s82, v3, 5                                  // 0000000090C0: D2890052 00010B03
	s_and_b32 s82, s82, 0xffffff                               // 0000000090C8: 8652FF52 00FFFFFF
	s_cmp_lt_u32 s82, s66                                      // 0000000090D0: BF0A4252
	s_cselect_b32 s21, s36, s60                                // 0000000090D4: 85153C24
	s_mov_b64 exec, s[20:21]                                   // 0000000090D8: BEFE0114
	global_atomic_add_f32 v6, v164, s[8:9]                     // 0000000090DC: DD348000 0008A406
	global_atomic_add_f32 v6, v168, s[8:9] offset:256          // 0000000090E4: DD348100 0008A806
	s_mov_b64 exec, s[36:37]                                   // 0000000090EC: BEFE0124
	v_mov_b32_e32 v6, v67                                      // 0000000090F0: 7E0C0343
	s_mov_b64 s[60:61], 0                                      // 0000000090F4: BEBC0180
	v_readlane_b32 s82, v3, 6                                  // 0000000090F8: D2890052 00010D03
	s_and_b32 s82, s82, 0xffffff                               // 000000009100: 8652FF52 00FFFFFF
	s_cmp_lt_u32 s82, s66                                      // 000000009108: BF0A4252
	s_cselect_b32 s20, s36, s60                                // 00000000910C: 85143C24
	v_readlane_b32 s82, v3, 7                                  // 000000009110: D2890052 00010F03
	s_and_b32 s82, s82, 0xffffff                               // 000000009118: 8652FF52 00FFFFFF
	s_cmp_lt_u32 s82, s66                                      // 000000009120: BF0A4252
	s_cselect_b32 s21, s36, s60                                // 000000009124: 85153C24
	s_mov_b64 exec, s[20:21]                                   // 000000009128: BEFE0114
	global_atomic_add_f32 v6, v165, s[8:9]                     // 00000000912C: DD348000 0008A506
	global_atomic_add_f32 v6, v169, s[8:9] offset:256          // 000000009134: DD348100 0008A906
	s_mov_b64 exec, s[36:37]                                   // 00000000913C: BEFE0124
	v_mov_b32_e32 v6, v68                                      // 000000009140: 7E0C0344
	s_mov_b64 s[60:61], 0                                      // 000000009144: BEBC0180
	v_readlane_b32 s82, v3, 8                                  // 000000009148: D2890052 00011103
	s_and_b32 s82, s82, 0xffffff                               // 000000009150: 8652FF52 00FFFFFF
	s_cmp_lt_u32 s82, s66                                      // 000000009158: BF0A4252
	s_cselect_b32 s20, s36, s60                                // 00000000915C: 85143C24
	v_readlane_b32 s82, v3, 9                                  // 000000009160: D2890052 00011303
	s_and_b32 s82, s82, 0xffffff                               // 000000009168: 8652FF52 00FFFFFF
	s_cmp_lt_u32 s82, s66                                      // 000000009170: BF0A4252
	s_cselect_b32 s21, s36, s60                                // 000000009174: 85153C24
	s_mov_b64 exec, s[20:21]                                   // 000000009178: BEFE0114
	global_atomic_add_f32 v6, v172, s[8:9]                     // 00000000917C: DD348000 0008AC06
	global_atomic_add_f32 v6, v176, s[8:9] offset:256          // 000000009184: DD348100 0008B006
	s_mov_b64 exec, s[36:37]                                   // 00000000918C: BEFE0124
	v_mov_b32_e32 v6, v69                                      // 000000009190: 7E0C0345
	s_mov_b64 s[60:61], 0                                      // 000000009194: BEBC0180
	v_readlane_b32 s82, v3, 10                                 // 000000009198: D2890052 00011503
	s_and_b32 s82, s82, 0xffffff                               // 0000000091A0: 8652FF52 00FFFFFF
	s_cmp_lt_u32 s82, s66                                      // 0000000091A8: BF0A4252
	s_cselect_b32 s20, s36, s60                                // 0000000091AC: 85143C24
	v_readlane_b32 s82, v3, 11                                 // 0000000091B0: D2890052 00011703
	s_and_b32 s82, s82, 0xffffff                               // 0000000091B8: 8652FF52 00FFFFFF
	s_cmp_lt_u32 s82, s66                                      // 0000000091C0: BF0A4252
	s_cselect_b32 s21, s36, s60                                // 0000000091C4: 85153C24
	s_mov_b64 exec, s[20:21]                                   // 0000000091C8: BEFE0114
	global_atomic_add_f32 v6, v173, s[8:9]                     // 0000000091CC: DD348000 0008AD06
	global_atomic_add_f32 v6, v177, s[8:9] offset:256          // 0000000091D4: DD348100 0008B106
	s_mov_b64 exec, s[36:37]                                   // 0000000091DC: BEFE0124
	v_mov_b32_e32 v6, v70                                      // 0000000091E0: 7E0C0346
	s_mov_b64 s[60:61], 0                                      // 0000000091E4: BEBC0180
	v_readlane_b32 s82, v3, 12                                 // 0000000091E8: D2890052 00011903
	s_and_b32 s82, s82, 0xffffff                               // 0000000091F0: 8652FF52 00FFFFFF
	s_cmp_lt_u32 s82, s66                                      // 0000000091F8: BF0A4252
	s_cselect_b32 s20, s36, s60                                // 0000000091FC: 85143C24
	v_readlane_b32 s82, v3, 13                                 // 000000009200: D2890052 00011B03
	s_and_b32 s82, s82, 0xffffff                               // 000000009208: 8652FF52 00FFFFFF
	s_cmp_lt_u32 s82, s66                                      // 000000009210: BF0A4252
	s_cselect_b32 s21, s36, s60                                // 000000009214: 85153C24
	s_mov_b64 exec, s[20:21]                                   // 000000009218: BEFE0114
	global_atomic_add_f32 v6, v180, s[8:9]                     // 00000000921C: DD348000 0008B406
	global_atomic_add_f32 v6, v184, s[8:9] offset:256          // 000000009224: DD348100 0008B806
	s_mov_b64 exec, s[36:37]                                   // 00000000922C: BEFE0124
	v_mov_b32_e32 v6, v71                                      // 000000009230: 7E0C0347
	s_mov_b64 s[60:61], 0                                      // 000000009234: BEBC0180
	v_readlane_b32 s82, v3, 14                                 // 000000009238: D2890052 00011D03
	s_and_b32 s82, s82, 0xffffff                               // 000000009240: 8652FF52 00FFFFFF
	s_cmp_lt_u32 s82, s66                                      // 000000009248: BF0A4252
	s_cselect_b32 s20, s36, s60                                // 00000000924C: 85143C24
	v_readlane_b32 s82, v3, 15                                 // 000000009250: D2890052 00011F03
	s_and_b32 s82, s82, 0xffffff                               // 000000009258: 8652FF52 00FFFFFF
	s_cmp_lt_u32 s82, s66                                      // 000000009260: BF0A4252
	s_cselect_b32 s21, s36, s60                                // 000000009264: 85153C24
	s_mov_b64 exec, s[20:21]                                   // 000000009268: BEFE0114
	global_atomic_add_f32 v6, v181, s[8:9]                     // 00000000926C: DD348000 0008B506
	global_atomic_add_f32 v6, v185, s[8:9] offset:256          // 000000009274: DD348100 0008B906
	s_mov_b64 exec, s[36:37]                                   // 00000000927C: BEFE0124
	v_mov_b32_e32 v6, v72                                      // 000000009280: 7E0C0348
	s_mov_b64 s[60:61], 0                                      // 000000009284: BEBC0180
	v_readlane_b32 s82, v3, 16                                 // 000000009288: D2890052 00012103
	s_and_b32 s82, s82, 0xffffff                               // 000000009290: 8652FF52 00FFFFFF
	s_cmp_lt_u32 s82, s66                                      // 000000009298: BF0A4252
	s_cselect_b32 s20, s36, s60                                // 00000000929C: 85143C24
	v_readlane_b32 s82, v3, 17                                 // 0000000092A0: D2890052 00012303
	s_and_b32 s82, s82, 0xffffff                               // 0000000092A8: 8652FF52 00FFFFFF
	s_cmp_lt_u32 s82, s66                                      // 0000000092B0: BF0A4252
	s_cselect_b32 s21, s36, s60                                // 0000000092B4: 85153C24
	s_mov_b64 exec, s[20:21]                                   // 0000000092B8: BEFE0114
	global_atomic_add_f32 v6, v188, s[8:9]                     // 0000000092BC: DD348000 0008BC06
	global_atomic_add_f32 v6, v192, s[8:9] offset:256          // 0000000092C4: DD348100 0008C006
	s_mov_b64 exec, s[36:37]                                   // 0000000092CC: BEFE0124
	v_mov_b32_e32 v6, v73                                      // 0000000092D0: 7E0C0349
	s_mov_b64 s[60:61], 0                                      // 0000000092D4: BEBC0180
	v_readlane_b32 s82, v3, 18                                 // 0000000092D8: D2890052 00012503
	s_and_b32 s82, s82, 0xffffff                               // 0000000092E0: 8652FF52 00FFFFFF
	s_cmp_lt_u32 s82, s66                                      // 0000000092E8: BF0A4252
	s_cselect_b32 s20, s36, s60                                // 0000000092EC: 85143C24
	v_readlane_b32 s82, v3, 19                                 // 0000000092F0: D2890052 00012703
	s_and_b32 s82, s82, 0xffffff                               // 0000000092F8: 8652FF52 00FFFFFF
	s_cmp_lt_u32 s82, s66                                      // 000000009300: BF0A4252
	s_cselect_b32 s21, s36, s60                                // 000000009304: 85153C24
	s_mov_b64 exec, s[20:21]                                   // 000000009308: BEFE0114
	global_atomic_add_f32 v6, v189, s[8:9]                     // 00000000930C: DD348000 0008BD06
	global_atomic_add_f32 v6, v193, s[8:9] offset:256          // 000000009314: DD348100 0008C106
	s_mov_b64 exec, s[36:37]                                   // 00000000931C: BEFE0124
	v_mov_b32_e32 v6, v74                                      // 000000009320: 7E0C034A
	s_mov_b64 s[60:61], 0                                      // 000000009324: BEBC0180
	v_readlane_b32 s82, v3, 20                                 // 000000009328: D2890052 00012903
	s_and_b32 s82, s82, 0xffffff                               // 000000009330: 8652FF52 00FFFFFF
	s_cmp_lt_u32 s82, s66                                      // 000000009338: BF0A4252
	s_cselect_b32 s20, s36, s60                                // 00000000933C: 85143C24
	v_readlane_b32 s82, v3, 21                                 // 000000009340: D2890052 00012B03
	s_and_b32 s82, s82, 0xffffff                               // 000000009348: 8652FF52 00FFFFFF
	s_cmp_lt_u32 s82, s66                                      // 000000009350: BF0A4252
	s_cselect_b32 s21, s36, s60                                // 000000009354: 85153C24
	s_mov_b64 exec, s[20:21]                                   // 000000009358: BEFE0114
	global_atomic_add_f32 v6, v196, s[8:9]                     // 00000000935C: DD348000 0008C406
	global_atomic_add_f32 v6, v200, s[8:9] offset:256          // 000000009364: DD348100 0008C806
	s_mov_b64 exec, s[36:37]                                   // 00000000936C: BEFE0124
	v_mov_b32_e32 v6, v75                                      // 000000009370: 7E0C034B
	s_mov_b64 s[60:61], 0                                      // 000000009374: BEBC0180
	v_readlane_b32 s82, v3, 22                                 // 000000009378: D2890052 00012D03
	s_and_b32 s82, s82, 0xffffff                               // 000000009380: 8652FF52 00FFFFFF
	s_cmp_lt_u32 s82, s66                                      // 000000009388: BF0A4252
	s_cselect_b32 s20, s36, s60                                // 00000000938C: 85143C24
	v_readlane_b32 s82, v3, 23                                 // 000000009390: D2890052 00012F03
	s_and_b32 s82, s82, 0xffffff                               // 000000009398: 8652FF52 00FFFFFF
	s_cmp_lt_u32 s82, s66                                      // 0000000093A0: BF0A4252
	s_cselect_b32 s21, s36, s60                                // 0000000093A4: 85153C24
	s_mov_b64 exec, s[20:21]                                   // 0000000093A8: BEFE0114
	global_atomic_add_f32 v6, v197, s[8:9]                     // 0000000093AC: DD348000 0008C506
	global_atomic_add_f32 v6, v201, s[8:9] offset:256          // 0000000093B4: DD348100 0008C906
	s_mov_b64 exec, s[36:37]                                   // 0000000093BC: BEFE0124
	v_mov_b32_e32 v6, v76                                      // 0000000093C0: 7E0C034C
	s_mov_b64 s[60:61], 0                                      // 0000000093C4: BEBC0180
	v_readlane_b32 s82, v3, 24                                 // 0000000093C8: D2890052 00013103
	s_and_b32 s82, s82, 0xffffff                               // 0000000093D0: 8652FF52 00FFFFFF
	s_cmp_lt_u32 s82, s66                                      // 0000000093D8: BF0A4252
	s_cselect_b32 s20, s36, s60                                // 0000000093DC: 85143C24
	v_readlane_b32 s82, v3, 25                                 // 0000000093E0: D2890052 00013303
	s_and_b32 s82, s82, 0xffffff                               // 0000000093E8: 8652FF52 00FFFFFF
	s_cmp_lt_u32 s82, s66                                      // 0000000093F0: BF0A4252
	s_cselect_b32 s21, s36, s60                                // 0000000093F4: 85153C24
	s_mov_b64 exec, s[20:21]                                   // 0000000093F8: BEFE0114
	global_atomic_add_f32 v6, v204, s[8:9]                     // 0000000093FC: DD348000 0008CC06
	global_atomic_add_f32 v6, v208, s[8:9] offset:256          // 000000009404: DD348100 0008D006
	s_mov_b64 exec, s[36:37]                                   // 00000000940C: BEFE0124
	v_mov_b32_e32 v6, v77                                      // 000000009410: 7E0C034D
	s_mov_b64 s[60:61], 0                                      // 000000009414: BEBC0180
	v_readlane_b32 s82, v3, 26                                 // 000000009418: D2890052 00013503
	s_and_b32 s82, s82, 0xffffff                               // 000000009420: 8652FF52 00FFFFFF
	s_cmp_lt_u32 s82, s66                                      // 000000009428: BF0A4252
	s_cselect_b32 s20, s36, s60                                // 00000000942C: 85143C24
	v_readlane_b32 s82, v3, 27                                 // 000000009430: D2890052 00013703
	s_and_b32 s82, s82, 0xffffff                               // 000000009438: 8652FF52 00FFFFFF
	s_cmp_lt_u32 s82, s66                                      // 000000009440: BF0A4252
	s_cselect_b32 s21, s36, s60                                // 000000009444: 85153C24
	s_mov_b64 exec, s[20:21]                                   // 000000009448: BEFE0114
	global_atomic_add_f32 v6, v205, s[8:9]                     // 00000000944C: DD348000 0008CD06
	global_atomic_add_f32 v6, v209, s[8:9] offset:256          // 000000009454: DD348100 0008D106
	s_mov_b64 exec, s[36:37]                                   // 00000000945C: BEFE0124
	v_mov_b32_e32 v6, v78                                      // 000000009460: 7E0C034E
	s_mov_b64 s[60:61], 0                                      // 000000009464: BEBC0180
	v_readlane_b32 s82, v3, 28                                 // 000000009468: D2890052 00013903
	s_and_b32 s82, s82, 0xffffff                               // 000000009470: 8652FF52 00FFFFFF
	s_cmp_lt_u32 s82, s66                                      // 000000009478: BF0A4252
	s_cselect_b32 s20, s36, s60                                // 00000000947C: 85143C24
	v_readlane_b32 s82, v3, 29                                 // 000000009480: D2890052 00013B03
	s_and_b32 s82, s82, 0xffffff                               // 000000009488: 8652FF52 00FFFFFF
	s_cmp_lt_u32 s82, s66                                      // 000000009490: BF0A4252
	s_cselect_b32 s21, s36, s60                                // 000000009494: 85153C24
	s_mov_b64 exec, s[20:21]                                   // 000000009498: BEFE0114
	global_atomic_add_f32 v6, v212, s[8:9]                     // 00000000949C: DD348000 0008D406
	global_atomic_add_f32 v6, v216, s[8:9] offset:256          // 0000000094A4: DD348100 0008D806
	s_mov_b64 exec, s[36:37]                                   // 0000000094AC: BEFE0124
	v_mov_b32_e32 v6, v79                                      // 0000000094B0: 7E0C034F
	s_mov_b64 s[60:61], 0                                      // 0000000094B4: BEBC0180
	v_readlane_b32 s82, v3, 30                                 // 0000000094B8: D2890052 00013D03
	s_and_b32 s82, s82, 0xffffff                               // 0000000094C0: 8652FF52 00FFFFFF
	s_cmp_lt_u32 s82, s66                                      // 0000000094C8: BF0A4252
	s_cselect_b32 s20, s36, s60                                // 0000000094CC: 85143C24
	v_readlane_b32 s82, v3, 31                                 // 0000000094D0: D2890052 00013F03
	s_and_b32 s82, s82, 0xffffff                               // 0000000094D8: 8652FF52 00FFFFFF
	s_cmp_lt_u32 s82, s66                                      // 0000000094E0: BF0A4252
	s_cselect_b32 s21, s36, s60                                // 0000000094E4: 85153C24
	s_mov_b64 exec, s[20:21]                                   // 0000000094E8: BEFE0114
	global_atomic_add_f32 v6, v213, s[8:9]                     // 0000000094EC: DD348000 0008D506
	global_atomic_add_f32 v6, v217, s[8:9] offset:256          // 0000000094F4: DD348100 0008D906
	s_mov_b64 exec, s[36:37]                                   // 0000000094FC: BEFE0124
	v_mov_b32_e32 v6, v80                                      // 000000009500: 7E0C0350
	s_mov_b64 s[60:61], 0                                      // 000000009504: BEBC0180
	v_readlane_b32 s82, v3, 32                                 // 000000009508: D2890052 00014103
	s_and_b32 s82, s82, 0xffffff                               // 000000009510: 8652FF52 00FFFFFF
	s_cmp_lt_u32 s82, s66                                      // 000000009518: BF0A4252
	s_cselect_b32 s20, s36, s60                                // 00000000951C: 85143C24
	v_readlane_b32 s82, v3, 33                                 // 000000009520: D2890052 00014303
	s_and_b32 s82, s82, 0xffffff                               // 000000009528: 8652FF52 00FFFFFF
	s_cmp_lt_u32 s82, s66                                      // 000000009530: BF0A4252
	s_cselect_b32 s21, s36, s60                                // 000000009534: 85153C24
	s_mov_b64 exec, s[20:21]                                   // 000000009538: BEFE0114
	global_atomic_add_f32 v6, v220, s[8:9]                     // 00000000953C: DD348000 0008DC06
	global_atomic_add_f32 v6, v224, s[8:9] offset:256          // 000000009544: DD348100 0008E006
	s_mov_b64 exec, s[36:37]                                   // 00000000954C: BEFE0124
	v_mov_b32_e32 v6, v81                                      // 000000009550: 7E0C0351
	s_mov_b64 s[60:61], 0                                      // 000000009554: BEBC0180
	v_readlane_b32 s82, v3, 34                                 // 000000009558: D2890052 00014503
	s_and_b32 s82, s82, 0xffffff                               // 000000009560: 8652FF52 00FFFFFF
	s_cmp_lt_u32 s82, s66                                      // 000000009568: BF0A4252
	s_cselect_b32 s20, s36, s60                                // 00000000956C: 85143C24
	v_readlane_b32 s82, v3, 35                                 // 000000009570: D2890052 00014703
	s_and_b32 s82, s82, 0xffffff                               // 000000009578: 8652FF52 00FFFFFF
	s_cmp_lt_u32 s82, s66                                      // 000000009580: BF0A4252
	s_cselect_b32 s21, s36, s60                                // 000000009584: 85153C24
	s_mov_b64 exec, s[20:21]                                   // 000000009588: BEFE0114
	global_atomic_add_f32 v6, v221, s[8:9]                     // 00000000958C: DD348000 0008DD06
	global_atomic_add_f32 v6, v225, s[8:9] offset:256          // 000000009594: DD348100 0008E106
	s_mov_b64 exec, s[36:37]                                   // 00000000959C: BEFE0124
	ds_write_b64 v20, v[158:159]                               // 0000000095A0: D89A0000 00009E14
	ds_write_b64 v20, v[162:163] offset:4352                   // 0000000095A8: D89A1100 0000A214
	ds_write_b64 v20, v[166:167] offset:8704                   // 0000000095B0: D89A2200 0000A614
	ds_write_b64 v20, v[170:171] offset:13056                  // 0000000095B8: D89A3300 0000AA14
	ds_write_b64 v20, v[174:175] offset:17408                  // 0000000095C0: D89A4400 0000AE14
	ds_write_b64 v20, v[178:179] offset:21760                  // 0000000095C8: D89A5500 0000B214
	ds_write_b64 v20, v[182:183] offset:26112                  // 0000000095D0: D89A6600 0000B614
	ds_write_b64 v20, v[186:187] offset:30464                  // 0000000095D8: D89A7700 0000BA14
	ds_write_b64 v20, v[190:191] offset:34816                  // 0000000095E0: D89A8800 0000BE14
	ds_write_b64 v20, v[194:195] offset:2176                   // 0000000095E8: D89A0880 0000C214
	ds_write_b64 v20, v[198:199] offset:6528                   // 0000000095F0: D89A1980 0000C614
	ds_write_b64 v20, v[202:203] offset:10880                  // 0000000095F8: D89A2A80 0000CA14
	ds_write_b64 v20, v[206:207] offset:15232                  // 000000009600: D89A3B80 0000CE14
	ds_write_b64 v20, v[210:211] offset:19584                  // 000000009608: D89A4C80 0000D214
	ds_write_b64 v20, v[214:215] offset:23936                  // 000000009610: D89A5D80 0000D614
	ds_write_b64 v20, v[218:219] offset:28288                  // 000000009618: D89A6E80 0000DA14
	ds_write_b64 v20, v[222:223] offset:32640                  // 000000009620: D89A7F80 0000DE14
	ds_write_b64 v20, v[226:227] offset:36992                  // 000000009628: D89A9080 0000E214
	s_waitcnt lgkmcnt(0)                                       // 000000009630: BF8CC07F
	s_barrier                                                  // 000000009634: BF8A0000
	ds_read_b32 v158, v21                                      // 000000009638: D86C0000 9E000015
	ds_read_b32 v159, v21 offset:64                            // 000000009640: D86C0040 9F000015
	ds_read_b32 v162, v21 offset:2176                          // 000000009648: D86C0880 A2000015
	ds_read_b32 v163, v21 offset:2240                          // 000000009650: D86C08C0 A3000015
	ds_read_b32 v166, v21 offset:4352                          // 000000009658: D86C1100 A6000015
	ds_read_b32 v167, v21 offset:4416                          // 000000009660: D86C1140 A7000015
	ds_read_b32 v170, v21 offset:6528                          // 000000009668: D86C1980 AA000015
	ds_read_b32 v171, v21 offset:6592                          // 000000009670: D86C19C0 AB000015
	ds_read_b32 v174, v21 offset:8704                          // 000000009678: D86C2200 AE000015
	ds_read_b32 v175, v21 offset:8768                          // 000000009680: D86C2240 AF000015
	ds_read_b32 v178, v21 offset:10880                         // 000000009688: D86C2A80 B2000015
	ds_read_b32 v179, v21 offset:10944                         // 000000009690: D86C2AC0 B3000015
	ds_read_b32 v182, v21 offset:13056                         // 000000009698: D86C3300 B6000015
	ds_read_b32 v183, v21 offset:13120                         // 0000000096A0: D86C3340 B7000015
	ds_read_b32 v186, v21 offset:15232                         // 0000000096A8: D86C3B80 BA000015
	ds_read_b32 v187, v21 offset:15296                         // 0000000096B0: D86C3BC0 BB000015
	ds_read_b32 v190, v21 offset:17408                         // 0000000096B8: D86C4400 BE000015
	ds_read_b32 v191, v21 offset:17472                         // 0000000096C0: D86C4440 BF000015
	ds_read_b32 v194, v21 offset:19584                         // 0000000096C8: D86C4C80 C2000015
	ds_read_b32 v195, v21 offset:19648                         // 0000000096D0: D86C4CC0 C3000015
	ds_read_b32 v198, v21 offset:21760                         // 0000000096D8: D86C5500 C6000015
	ds_read_b32 v199, v21 offset:21824                         // 0000000096E0: D86C5540 C7000015
	ds_read_b32 v202, v21 offset:23936                         // 0000000096E8: D86C5D80 CA000015
	ds_read_b32 v203, v21 offset:24000                         // 0000000096F0: D86C5DC0 CB000015
	ds_read_b32 v206, v21 offset:26112                         // 0000000096F8: D86C6600 CE000015
	ds_read_b32 v207, v21 offset:26176                         // 000000009700: D86C6640 CF000015
	ds_read_b32 v210, v21 offset:28288                         // 000000009708: D86C6E80 D2000015
	ds_read_b32 v211, v21 offset:28352                         // 000000009710: D86C6EC0 D3000015
	ds_read_b32 v214, v21 offset:30464                         // 000000009718: D86C7700 D6000015
	ds_read_b32 v215, v21 offset:30528                         // 000000009720: D86C7740 D7000015
	ds_read_b32 v218, v21 offset:32640                         // 000000009728: D86C7F80 DA000015
	ds_read_b32 v219, v21 offset:32704                         // 000000009730: D86C7FC0 DB000015
	ds_read_b32 v222, v21 offset:34816                         // 000000009738: D86C8800 DE000015
	ds_read_b32 v223, v21 offset:34880                         // 000000009740: D86C8840 DF000015
	ds_read_b32 v226, v21 offset:36992                         // 000000009748: D86C9080 E2000015
	ds_read_b32 v227, v21 offset:37056                         // 000000009750: D86C90C0 E3000015
	s_waitcnt lgkmcnt(0)                                       // 000000009758: BF8CC07F
	v_mov_b32_e32 v7, 0                                        // 00000000975C: 7E0E0280
	s_mov_b64 exec, s[36:37]                                   // 000000009760: BEFE0124
	v_mov_b32_e32 v6, v64                                      // 000000009764: 7E0C0340
	s_mov_b64 s[60:61], 0                                      // 000000009768: BEBC0180
	v_readlane_b32 s82, v3, 0                                  // 00000000976C: D2890052 00010103
	s_and_b32 s82, s82, 0xffffff                               // 000000009774: 8652FF52 00FFFFFF
	s_cmp_lt_u32 s82, s66                                      // 00000000977C: BF0A4252
	s_cselect_b32 s20, s36, s60                                // 000000009780: 85143C24
	v_readlane_b32 s82, v3, 1                                  // 000000009784: D2890052 00010303
	s_and_b32 s82, s82, 0xffffff                               // 00000000978C: 8652FF52 00FFFFFF
	s_cmp_lt_u32 s82, s66                                      // 000000009794: BF0A4252
	s_cselect_b32 s21, s36, s60                                // 000000009798: 85153C24
	s_mov_b64 exec, s[20:21]                                   // 00000000979C: BEFE0114
	global_atomic_add_f32 v6, v158, s[8:9] offset:8            // 0000000097A0: DD348008 00089E06
	global_atomic_add_f32 v6, v162, s[8:9] offset:264          // 0000000097A8: DD348108 0008A206
	s_mov_b64 exec, s[36:37]                                   // 0000000097B0: BEFE0124
	v_mov_b32_e32 v6, v65                                      // 0000000097B4: 7E0C0341
	s_mov_b64 s[60:61], 0                                      // 0000000097B8: BEBC0180
	v_readlane_b32 s82, v3, 2                                  // 0000000097BC: D2890052 00010503
	s_and_b32 s82, s82, 0xffffff                               // 0000000097C4: 8652FF52 00FFFFFF
	s_cmp_lt_u32 s82, s66                                      // 0000000097CC: BF0A4252
	s_cselect_b32 s20, s36, s60                                // 0000000097D0: 85143C24
	v_readlane_b32 s82, v3, 3                                  // 0000000097D4: D2890052 00010703
	s_and_b32 s82, s82, 0xffffff                               // 0000000097DC: 8652FF52 00FFFFFF
	s_cmp_lt_u32 s82, s66                                      // 0000000097E4: BF0A4252
	s_cselect_b32 s21, s36, s60                                // 0000000097E8: 85153C24
	s_mov_b64 exec, s[20:21]                                   // 0000000097EC: BEFE0114
	global_atomic_add_f32 v6, v159, s[8:9] offset:8            // 0000000097F0: DD348008 00089F06
	global_atomic_add_f32 v6, v163, s[8:9] offset:264          // 0000000097F8: DD348108 0008A306
	s_mov_b64 exec, s[36:37]                                   // 000000009800: BEFE0124
	v_mov_b32_e32 v6, v66                                      // 000000009804: 7E0C0342
	s_mov_b64 s[60:61], 0                                      // 000000009808: BEBC0180
	v_readlane_b32 s82, v3, 4                                  // 00000000980C: D2890052 00010903
	s_and_b32 s82, s82, 0xffffff                               // 000000009814: 8652FF52 00FFFFFF
	s_cmp_lt_u32 s82, s66                                      // 00000000981C: BF0A4252
	s_cselect_b32 s20, s36, s60                                // 000000009820: 85143C24
	v_readlane_b32 s82, v3, 5                                  // 000000009824: D2890052 00010B03
	s_and_b32 s82, s82, 0xffffff                               // 00000000982C: 8652FF52 00FFFFFF
	s_cmp_lt_u32 s82, s66                                      // 000000009834: BF0A4252
	s_cselect_b32 s21, s36, s60                                // 000000009838: 85153C24
	s_mov_b64 exec, s[20:21]                                   // 00000000983C: BEFE0114
	global_atomic_add_f32 v6, v166, s[8:9] offset:8            // 000000009840: DD348008 0008A606
	global_atomic_add_f32 v6, v170, s[8:9] offset:264          // 000000009848: DD348108 0008AA06
	s_mov_b64 exec, s[36:37]                                   // 000000009850: BEFE0124
	v_mov_b32_e32 v6, v67                                      // 000000009854: 7E0C0343
	s_mov_b64 s[60:61], 0                                      // 000000009858: BEBC0180
	v_readlane_b32 s82, v3, 6                                  // 00000000985C: D2890052 00010D03
	s_and_b32 s82, s82, 0xffffff                               // 000000009864: 8652FF52 00FFFFFF
	s_cmp_lt_u32 s82, s66                                      // 00000000986C: BF0A4252
	s_cselect_b32 s20, s36, s60                                // 000000009870: 85143C24
	v_readlane_b32 s82, v3, 7                                  // 000000009874: D2890052 00010F03
	s_and_b32 s82, s82, 0xffffff                               // 00000000987C: 8652FF52 00FFFFFF
	s_cmp_lt_u32 s82, s66                                      // 000000009884: BF0A4252
	s_cselect_b32 s21, s36, s60                                // 000000009888: 85153C24
	s_mov_b64 exec, s[20:21]                                   // 00000000988C: BEFE0114
	global_atomic_add_f32 v6, v167, s[8:9] offset:8            // 000000009890: DD348008 0008A706
	global_atomic_add_f32 v6, v171, s[8:9] offset:264          // 000000009898: DD348108 0008AB06
	s_mov_b64 exec, s[36:37]                                   // 0000000098A0: BEFE0124
	v_mov_b32_e32 v6, v68                                      // 0000000098A4: 7E0C0344
	s_mov_b64 s[60:61], 0                                      // 0000000098A8: BEBC0180
	v_readlane_b32 s82, v3, 8                                  // 0000000098AC: D2890052 00011103
	s_and_b32 s82, s82, 0xffffff                               // 0000000098B4: 8652FF52 00FFFFFF
	s_cmp_lt_u32 s82, s66                                      // 0000000098BC: BF0A4252
	s_cselect_b32 s20, s36, s60                                // 0000000098C0: 85143C24
	v_readlane_b32 s82, v3, 9                                  // 0000000098C4: D2890052 00011303
	s_and_b32 s82, s82, 0xffffff                               // 0000000098CC: 8652FF52 00FFFFFF
	s_cmp_lt_u32 s82, s66                                      // 0000000098D4: BF0A4252
	s_cselect_b32 s21, s36, s60                                // 0000000098D8: 85153C24
	s_mov_b64 exec, s[20:21]                                   // 0000000098DC: BEFE0114
	global_atomic_add_f32 v6, v174, s[8:9] offset:8            // 0000000098E0: DD348008 0008AE06
	global_atomic_add_f32 v6, v178, s[8:9] offset:264          // 0000000098E8: DD348108 0008B206
	s_mov_b64 exec, s[36:37]                                   // 0000000098F0: BEFE0124
	v_mov_b32_e32 v6, v69                                      // 0000000098F4: 7E0C0345
	s_mov_b64 s[60:61], 0                                      // 0000000098F8: BEBC0180
	v_readlane_b32 s82, v3, 10                                 // 0000000098FC: D2890052 00011503
	s_and_b32 s82, s82, 0xffffff                               // 000000009904: 8652FF52 00FFFFFF
	s_cmp_lt_u32 s82, s66                                      // 00000000990C: BF0A4252
	s_cselect_b32 s20, s36, s60                                // 000000009910: 85143C24
	v_readlane_b32 s82, v3, 11                                 // 000000009914: D2890052 00011703
	s_and_b32 s82, s82, 0xffffff                               // 00000000991C: 8652FF52 00FFFFFF
	s_cmp_lt_u32 s82, s66                                      // 000000009924: BF0A4252
	s_cselect_b32 s21, s36, s60                                // 000000009928: 85153C24
	s_mov_b64 exec, s[20:21]                                   // 00000000992C: BEFE0114
	global_atomic_add_f32 v6, v175, s[8:9] offset:8            // 000000009930: DD348008 0008AF06
	global_atomic_add_f32 v6, v179, s[8:9] offset:264          // 000000009938: DD348108 0008B306
	s_mov_b64 exec, s[36:37]                                   // 000000009940: BEFE0124
	v_mov_b32_e32 v6, v70                                      // 000000009944: 7E0C0346
	s_mov_b64 s[60:61], 0                                      // 000000009948: BEBC0180
	v_readlane_b32 s82, v3, 12                                 // 00000000994C: D2890052 00011903
	s_and_b32 s82, s82, 0xffffff                               // 000000009954: 8652FF52 00FFFFFF
	s_cmp_lt_u32 s82, s66                                      // 00000000995C: BF0A4252
	s_cselect_b32 s20, s36, s60                                // 000000009960: 85143C24
	v_readlane_b32 s82, v3, 13                                 // 000000009964: D2890052 00011B03
	s_and_b32 s82, s82, 0xffffff                               // 00000000996C: 8652FF52 00FFFFFF
	s_cmp_lt_u32 s82, s66                                      // 000000009974: BF0A4252
	s_cselect_b32 s21, s36, s60                                // 000000009978: 85153C24
	s_mov_b64 exec, s[20:21]                                   // 00000000997C: BEFE0114
	global_atomic_add_f32 v6, v182, s[8:9] offset:8            // 000000009980: DD348008 0008B606
	global_atomic_add_f32 v6, v186, s[8:9] offset:264          // 000000009988: DD348108 0008BA06
	s_mov_b64 exec, s[36:37]                                   // 000000009990: BEFE0124
	v_mov_b32_e32 v6, v71                                      // 000000009994: 7E0C0347
	s_mov_b64 s[60:61], 0                                      // 000000009998: BEBC0180
	v_readlane_b32 s82, v3, 14                                 // 00000000999C: D2890052 00011D03
	s_and_b32 s82, s82, 0xffffff                               // 0000000099A4: 8652FF52 00FFFFFF
	s_cmp_lt_u32 s82, s66                                      // 0000000099AC: BF0A4252
	s_cselect_b32 s20, s36, s60                                // 0000000099B0: 85143C24
	v_readlane_b32 s82, v3, 15                                 // 0000000099B4: D2890052 00011F03
	s_and_b32 s82, s82, 0xffffff                               // 0000000099BC: 8652FF52 00FFFFFF
	s_cmp_lt_u32 s82, s66                                      // 0000000099C4: BF0A4252
	s_cselect_b32 s21, s36, s60                                // 0000000099C8: 85153C24
	s_mov_b64 exec, s[20:21]                                   // 0000000099CC: BEFE0114
	global_atomic_add_f32 v6, v183, s[8:9] offset:8            // 0000000099D0: DD348008 0008B706
	global_atomic_add_f32 v6, v187, s[8:9] offset:264          // 0000000099D8: DD348108 0008BB06
	s_mov_b64 exec, s[36:37]                                   // 0000000099E0: BEFE0124
	v_mov_b32_e32 v6, v72                                      // 0000000099E4: 7E0C0348
	s_mov_b64 s[60:61], 0                                      // 0000000099E8: BEBC0180
	v_readlane_b32 s82, v3, 16                                 // 0000000099EC: D2890052 00012103
	s_and_b32 s82, s82, 0xffffff                               // 0000000099F4: 8652FF52 00FFFFFF
	s_cmp_lt_u32 s82, s66                                      // 0000000099FC: BF0A4252
	s_cselect_b32 s20, s36, s60                                // 000000009A00: 85143C24
	v_readlane_b32 s82, v3, 17                                 // 000000009A04: D2890052 00012303
	s_and_b32 s82, s82, 0xffffff                               // 000000009A0C: 8652FF52 00FFFFFF
	s_cmp_lt_u32 s82, s66                                      // 000000009A14: BF0A4252
	s_cselect_b32 s21, s36, s60                                // 000000009A18: 85153C24
	s_mov_b64 exec, s[20:21]                                   // 000000009A1C: BEFE0114
	global_atomic_add_f32 v6, v190, s[8:9] offset:8            // 000000009A20: DD348008 0008BE06
	global_atomic_add_f32 v6, v194, s[8:9] offset:264          // 000000009A28: DD348108 0008C206
	s_mov_b64 exec, s[36:37]                                   // 000000009A30: BEFE0124
	v_mov_b32_e32 v6, v73                                      // 000000009A34: 7E0C0349
	s_mov_b64 s[60:61], 0                                      // 000000009A38: BEBC0180
	v_readlane_b32 s82, v3, 18                                 // 000000009A3C: D2890052 00012503
	s_and_b32 s82, s82, 0xffffff                               // 000000009A44: 8652FF52 00FFFFFF
	s_cmp_lt_u32 s82, s66                                      // 000000009A4C: BF0A4252
	s_cselect_b32 s20, s36, s60                                // 000000009A50: 85143C24
	v_readlane_b32 s82, v3, 19                                 // 000000009A54: D2890052 00012703
	s_and_b32 s82, s82, 0xffffff                               // 000000009A5C: 8652FF52 00FFFFFF
	s_cmp_lt_u32 s82, s66                                      // 000000009A64: BF0A4252
	s_cselect_b32 s21, s36, s60                                // 000000009A68: 85153C24
	s_mov_b64 exec, s[20:21]                                   // 000000009A6C: BEFE0114
	global_atomic_add_f32 v6, v191, s[8:9] offset:8            // 000000009A70: DD348008 0008BF06
	global_atomic_add_f32 v6, v195, s[8:9] offset:264          // 000000009A78: DD348108 0008C306
	s_mov_b64 exec, s[36:37]                                   // 000000009A80: BEFE0124
	v_mov_b32_e32 v6, v74                                      // 000000009A84: 7E0C034A
	s_mov_b64 s[60:61], 0                                      // 000000009A88: BEBC0180
	v_readlane_b32 s82, v3, 20                                 // 000000009A8C: D2890052 00012903
	s_and_b32 s82, s82, 0xffffff                               // 000000009A94: 8652FF52 00FFFFFF
	s_cmp_lt_u32 s82, s66                                      // 000000009A9C: BF0A4252
	s_cselect_b32 s20, s36, s60                                // 000000009AA0: 85143C24
	v_readlane_b32 s82, v3, 21                                 // 000000009AA4: D2890052 00012B03
	s_and_b32 s82, s82, 0xffffff                               // 000000009AAC: 8652FF52 00FFFFFF
	s_cmp_lt_u32 s82, s66                                      // 000000009AB4: BF0A4252
	s_cselect_b32 s21, s36, s60                                // 000000009AB8: 85153C24
	s_mov_b64 exec, s[20:21]                                   // 000000009ABC: BEFE0114
	global_atomic_add_f32 v6, v198, s[8:9] offset:8            // 000000009AC0: DD348008 0008C606
	global_atomic_add_f32 v6, v202, s[8:9] offset:264          // 000000009AC8: DD348108 0008CA06
	s_mov_b64 exec, s[36:37]                                   // 000000009AD0: BEFE0124
	v_mov_b32_e32 v6, v75                                      // 000000009AD4: 7E0C034B
	s_mov_b64 s[60:61], 0                                      // 000000009AD8: BEBC0180
	v_readlane_b32 s82, v3, 22                                 // 000000009ADC: D2890052 00012D03
	s_and_b32 s82, s82, 0xffffff                               // 000000009AE4: 8652FF52 00FFFFFF
	s_cmp_lt_u32 s82, s66                                      // 000000009AEC: BF0A4252
	s_cselect_b32 s20, s36, s60                                // 000000009AF0: 85143C24
	v_readlane_b32 s82, v3, 23                                 // 000000009AF4: D2890052 00012F03
	s_and_b32 s82, s82, 0xffffff                               // 000000009AFC: 8652FF52 00FFFFFF
	s_cmp_lt_u32 s82, s66                                      // 000000009B04: BF0A4252
	s_cselect_b32 s21, s36, s60                                // 000000009B08: 85153C24
	s_mov_b64 exec, s[20:21]                                   // 000000009B0C: BEFE0114
	global_atomic_add_f32 v6, v199, s[8:9] offset:8            // 000000009B10: DD348008 0008C706
	global_atomic_add_f32 v6, v203, s[8:9] offset:264          // 000000009B18: DD348108 0008CB06
	s_mov_b64 exec, s[36:37]                                   // 000000009B20: BEFE0124
	v_mov_b32_e32 v6, v76                                      // 000000009B24: 7E0C034C
	s_mov_b64 s[60:61], 0                                      // 000000009B28: BEBC0180
	v_readlane_b32 s82, v3, 24                                 // 000000009B2C: D2890052 00013103
	s_and_b32 s82, s82, 0xffffff                               // 000000009B34: 8652FF52 00FFFFFF
	s_cmp_lt_u32 s82, s66                                      // 000000009B3C: BF0A4252
	s_cselect_b32 s20, s36, s60                                // 000000009B40: 85143C24
	v_readlane_b32 s82, v3, 25                                 // 000000009B44: D2890052 00013303
	s_and_b32 s82, s82, 0xffffff                               // 000000009B4C: 8652FF52 00FFFFFF
	s_cmp_lt_u32 s82, s66                                      // 000000009B54: BF0A4252
	s_cselect_b32 s21, s36, s60                                // 000000009B58: 85153C24
	s_mov_b64 exec, s[20:21]                                   // 000000009B5C: BEFE0114
	global_atomic_add_f32 v6, v206, s[8:9] offset:8            // 000000009B60: DD348008 0008CE06
	global_atomic_add_f32 v6, v210, s[8:9] offset:264          // 000000009B68: DD348108 0008D206
	s_mov_b64 exec, s[36:37]                                   // 000000009B70: BEFE0124
	v_mov_b32_e32 v6, v77                                      // 000000009B74: 7E0C034D
	s_mov_b64 s[60:61], 0                                      // 000000009B78: BEBC0180
	v_readlane_b32 s82, v3, 26                                 // 000000009B7C: D2890052 00013503
	s_and_b32 s82, s82, 0xffffff                               // 000000009B84: 8652FF52 00FFFFFF
	s_cmp_lt_u32 s82, s66                                      // 000000009B8C: BF0A4252
	s_cselect_b32 s20, s36, s60                                // 000000009B90: 85143C24
	v_readlane_b32 s82, v3, 27                                 // 000000009B94: D2890052 00013703
	s_and_b32 s82, s82, 0xffffff                               // 000000009B9C: 8652FF52 00FFFFFF
	s_cmp_lt_u32 s82, s66                                      // 000000009BA4: BF0A4252
	s_cselect_b32 s21, s36, s60                                // 000000009BA8: 85153C24
	s_mov_b64 exec, s[20:21]                                   // 000000009BAC: BEFE0114
	global_atomic_add_f32 v6, v207, s[8:9] offset:8            // 000000009BB0: DD348008 0008CF06
	global_atomic_add_f32 v6, v211, s[8:9] offset:264          // 000000009BB8: DD348108 0008D306
	s_mov_b64 exec, s[36:37]                                   // 000000009BC0: BEFE0124
	v_mov_b32_e32 v6, v78                                      // 000000009BC4: 7E0C034E
	s_mov_b64 s[60:61], 0                                      // 000000009BC8: BEBC0180
	v_readlane_b32 s82, v3, 28                                 // 000000009BCC: D2890052 00013903
	s_and_b32 s82, s82, 0xffffff                               // 000000009BD4: 8652FF52 00FFFFFF
	s_cmp_lt_u32 s82, s66                                      // 000000009BDC: BF0A4252
	s_cselect_b32 s20, s36, s60                                // 000000009BE0: 85143C24
	v_readlane_b32 s82, v3, 29                                 // 000000009BE4: D2890052 00013B03
	s_and_b32 s82, s82, 0xffffff                               // 000000009BEC: 8652FF52 00FFFFFF
	s_cmp_lt_u32 s82, s66                                      // 000000009BF4: BF0A4252
	s_cselect_b32 s21, s36, s60                                // 000000009BF8: 85153C24
	s_mov_b64 exec, s[20:21]                                   // 000000009BFC: BEFE0114
	global_atomic_add_f32 v6, v214, s[8:9] offset:8            // 000000009C00: DD348008 0008D606
	global_atomic_add_f32 v6, v218, s[8:9] offset:264          // 000000009C08: DD348108 0008DA06
	s_mov_b64 exec, s[36:37]                                   // 000000009C10: BEFE0124
	v_mov_b32_e32 v6, v79                                      // 000000009C14: 7E0C034F
	s_mov_b64 s[60:61], 0                                      // 000000009C18: BEBC0180
	v_readlane_b32 s82, v3, 30                                 // 000000009C1C: D2890052 00013D03
	s_and_b32 s82, s82, 0xffffff                               // 000000009C24: 8652FF52 00FFFFFF
	s_cmp_lt_u32 s82, s66                                      // 000000009C2C: BF0A4252
	s_cselect_b32 s20, s36, s60                                // 000000009C30: 85143C24
	v_readlane_b32 s82, v3, 31                                 // 000000009C34: D2890052 00013F03
	s_and_b32 s82, s82, 0xffffff                               // 000000009C3C: 8652FF52 00FFFFFF
	s_cmp_lt_u32 s82, s66                                      // 000000009C44: BF0A4252
	s_cselect_b32 s21, s36, s60                                // 000000009C48: 85153C24
	s_mov_b64 exec, s[20:21]                                   // 000000009C4C: BEFE0114
	global_atomic_add_f32 v6, v215, s[8:9] offset:8            // 000000009C50: DD348008 0008D706
	global_atomic_add_f32 v6, v219, s[8:9] offset:264          // 000000009C58: DD348108 0008DB06
	s_mov_b64 exec, s[36:37]                                   // 000000009C60: BEFE0124
	v_mov_b32_e32 v6, v80                                      // 000000009C64: 7E0C0350
	s_mov_b64 s[60:61], 0                                      // 000000009C68: BEBC0180
	v_readlane_b32 s82, v3, 32                                 // 000000009C6C: D2890052 00014103
	s_and_b32 s82, s82, 0xffffff                               // 000000009C74: 8652FF52 00FFFFFF
	s_cmp_lt_u32 s82, s66                                      // 000000009C7C: BF0A4252
	s_cselect_b32 s20, s36, s60                                // 000000009C80: 85143C24
	v_readlane_b32 s82, v3, 33                                 // 000000009C84: D2890052 00014303
	s_and_b32 s82, s82, 0xffffff                               // 000000009C8C: 8652FF52 00FFFFFF
	s_cmp_lt_u32 s82, s66                                      // 000000009C94: BF0A4252
	s_cselect_b32 s21, s36, s60                                // 000000009C98: 85153C24
	s_mov_b64 exec, s[20:21]                                   // 000000009C9C: BEFE0114
	global_atomic_add_f32 v6, v222, s[8:9] offset:8            // 000000009CA0: DD348008 0008DE06
	global_atomic_add_f32 v6, v226, s[8:9] offset:264          // 000000009CA8: DD348108 0008E206
	s_mov_b64 exec, s[36:37]                                   // 000000009CB0: BEFE0124
	v_mov_b32_e32 v6, v81                                      // 000000009CB4: 7E0C0351
	s_mov_b64 s[60:61], 0                                      // 000000009CB8: BEBC0180
	v_readlane_b32 s82, v3, 34                                 // 000000009CBC: D2890052 00014503
	s_and_b32 s82, s82, 0xffffff                               // 000000009CC4: 8652FF52 00FFFFFF
	s_cmp_lt_u32 s82, s66                                      // 000000009CCC: BF0A4252
	s_cselect_b32 s20, s36, s60                                // 000000009CD0: 85143C24
	v_readlane_b32 s82, v3, 35                                 // 000000009CD4: D2890052 00014703
	s_and_b32 s82, s82, 0xffffff                               // 000000009CDC: 8652FF52 00FFFFFF
	s_cmp_lt_u32 s82, s66                                      // 000000009CE4: BF0A4252
	s_cselect_b32 s21, s36, s60                                // 000000009CE8: 85153C24
	s_mov_b64 exec, s[20:21]                                   // 000000009CEC: BEFE0114
	global_atomic_add_f32 v6, v223, s[8:9] offset:8            // 000000009CF0: DD348008 0008DF06
	global_atomic_add_f32 v6, v227, s[8:9] offset:264          // 000000009CF8: DD348108 0008E306
	s_mov_b64 exec, s[36:37]                                   // 000000009D00: BEFE0124
	s_branch label_358A                                        // 000000009D04: BF8218C5

0000000000009d08 <label_1CC5>:
	s_waitcnt vmcnt(2) lgkmcnt(0)                              // 000000009D08: BF8C0072
	s_barrier                                                  // 000000009D0C: BF8A0000
	v_mfma_f32_16x16x32_fp8_fp8 v[84:87], a[144:145], a[0:1], v[84:87]// 000000009D10: D3F30054 1D520190
	buffer_load_dwordx4 a[160:163], v82, s[84:87], 0 offen     // 000000009D18: E05C1000 8095A052
	v_mfma_f32_16x16x32_fp8_fp8 v[84:87], a[146:147], a[2:3], v[84:87]// 000000009D20: D3F30054 1D520592
	v_mfma_f32_16x16x32_fp8_fp8 v[84:87], a[148:149], a[4:5], v[84:87]// 000000009D28: D3F30054 1D520994
	v_mfma_f32_16x16x32_fp8_fp8 v[84:87], a[150:151], a[6:7], v[84:87]// 000000009D30: D3F30054 1D520D96
	v_mfma_f32_16x16x32_fp8_fp8 v[88:91], a[144:145], a[8:9], v[88:91]// 000000009D38: D3F30058 1D621190
	buffer_load_dwordx4 a[164:167], v82, s[84:87], 0 offen offset:1024// 000000009D40: E05C1400 8095A452
	v_mfma_f32_16x16x32_fp8_fp8 v[88:91], a[146:147], a[10:11], v[88:91]// 000000009D48: D3F30058 1D621592
	v_mfma_f32_16x16x32_fp8_fp8 v[88:91], a[148:149], a[12:13], v[88:91]// 000000009D50: D3F30058 1D621994
	v_mfma_f32_16x16x32_fp8_fp8 v[88:91], a[150:151], a[14:15], v[88:91]// 000000009D58: D3F30058 1D621D96
	v_mfma_f32_16x16x32_fp8_fp8 v[92:95], a[144:145], a[16:17], v[92:95]// 000000009D60: D3F3005C 1D722190
	buffer_load_dwordx4 a[168:171], v83, s[84:87], 0 offen     // 000000009D68: E05C1000 8095A853
	v_mfma_f32_16x16x32_fp8_fp8 v[92:95], a[146:147], a[18:19], v[92:95]// 000000009D70: D3F3005C 1D722592
	v_mfma_f32_16x16x32_fp8_fp8 v[92:95], a[148:149], a[20:21], v[92:95]// 000000009D78: D3F3005C 1D722994
	v_mfma_f32_16x16x32_fp8_fp8 v[92:95], a[150:151], a[22:23], v[92:95]// 000000009D80: D3F3005C 1D722D96
	v_mfma_f32_16x16x32_fp8_fp8 v[96:99], a[144:145], a[24:25], v[96:99]// 000000009D88: D3F30060 1D823190
	buffer_load_dwordx4 a[172:175], v83, s[84:87], 0 offen offset:1024// 000000009D90: E05C1400 8095AC53
	buffer_load_dword v64, s[20:23], 0 offen lds               // 000000009D98: E0511000 80050040
	s_add_u32 m0, 0x100, s48                                   // 000000009DA0: 807C30FF 00000100
	v_mfma_f32_16x16x32_fp8_fp8 v[96:99], a[146:147], a[26:27], v[96:99]// 000000009DA8: D3F30060 1D823592
	v_mfma_f32_16x16x32_fp8_fp8 v[96:99], a[148:149], a[28:29], v[96:99]// 000000009DB0: D3F30060 1D823994
	buffer_load_dword v65, s[20:23], 0 offen lds               // 000000009DB8: E0511000 80050041
	s_add_u32 m0, 0x200, s48                                   // 000000009DC0: 807C30FF 00000200
	v_mfma_f32_16x16x32_fp8_fp8 v[96:99], a[150:151], a[30:31], v[96:99]// 000000009DC8: D3F30060 1D823D96
	v_mfma_f32_16x16x32_fp8_fp8 v[100:103], a[144:145], a[32:33], v[100:103]// 000000009DD0: D3F30064 1D924190
	buffer_load_dword v66, s[20:23], 0 offen lds               // 000000009DD8: E0511000 80050042
	s_add_u32 m0, 0x300, s48                                   // 000000009DE0: 807C30FF 00000300
	v_mfma_f32_16x16x32_fp8_fp8 v[100:103], a[146:147], a[34:35], v[100:103]// 000000009DE8: D3F30064 1D924592
	v_mfma_f32_16x16x32_fp8_fp8 v[100:103], a[148:149], a[36:37], v[100:103]// 000000009DF0: D3F30064 1D924994
	buffer_load_dword v67, s[20:23], 0 offen lds               // 000000009DF8: E0511000 80050043
	s_add_u32 m0, 0x400, s48                                   // 000000009E00: 807C30FF 00000400
	v_mfma_f32_16x16x32_fp8_fp8 v[100:103], a[150:151], a[38:39], v[100:103]// 000000009E08: D3F30064 1D924D96
	v_mfma_f32_16x16x32_fp8_fp8 v[104:107], a[144:145], a[40:41], v[104:107]// 000000009E10: D3F30068 1DA25190
	buffer_load_dword v68, s[20:23], 0 offen lds               // 000000009E18: E0511000 80050044
	s_add_u32 m0, 0x500, s48                                   // 000000009E20: 807C30FF 00000500
	v_mfma_f32_16x16x32_fp8_fp8 v[104:107], a[146:147], a[42:43], v[104:107]// 000000009E28: D3F30068 1DA25592
	v_mfma_f32_16x16x32_fp8_fp8 v[104:107], a[148:149], a[44:45], v[104:107]// 000000009E30: D3F30068 1DA25994
	buffer_load_dword v69, s[20:23], 0 offen lds               // 000000009E38: E0511000 80050045
	s_add_u32 m0, 0x600, s48                                   // 000000009E40: 807C30FF 00000600
	v_mfma_f32_16x16x32_fp8_fp8 v[104:107], a[150:151], a[46:47], v[104:107]// 000000009E48: D3F30068 1DA25D96
	v_mfma_f32_16x16x32_fp8_fp8 v[108:111], a[144:145], a[48:49], v[108:111]// 000000009E50: D3F3006C 1DB26190
	buffer_load_dword v70, s[20:23], 0 offen lds               // 000000009E58: E0511000 80050046
	s_add_u32 m0, 0x700, s48                                   // 000000009E60: 807C30FF 00000700
	v_mfma_f32_16x16x32_fp8_fp8 v[108:111], a[146:147], a[50:51], v[108:111]// 000000009E68: D3F3006C 1DB26592
	v_mfma_f32_16x16x32_fp8_fp8 v[108:111], a[148:149], a[52:53], v[108:111]// 000000009E70: D3F3006C 1DB26994
	buffer_load_dword v71, s[20:23], 0 offen lds               // 000000009E78: E0511000 80050047
	s_add_u32 m0, 0x800, s48                                   // 000000009E80: 807C30FF 00000800
	v_mfma_f32_16x16x32_fp8_fp8 v[108:111], a[150:151], a[54:55], v[108:111]// 000000009E88: D3F3006C 1DB26D96
	v_mfma_f32_16x16x32_fp8_fp8 v[112:115], a[144:145], a[56:57], v[112:115]// 000000009E90: D3F30070 1DC27190
	buffer_load_dword v72, s[20:23], 0 offen lds               // 000000009E98: E0511000 80050048
	s_add_u32 m0, 0x900, s48                                   // 000000009EA0: 807C30FF 00000900
	v_mfma_f32_16x16x32_fp8_fp8 v[112:115], a[146:147], a[58:59], v[112:115]// 000000009EA8: D3F30070 1DC27592
	v_mfma_f32_16x16x32_fp8_fp8 v[112:115], a[148:149], a[60:61], v[112:115]// 000000009EB0: D3F30070 1DC27994
	buffer_load_dword v73, s[20:23], 0 offen lds               // 000000009EB8: E0511000 80050049
	s_add_u32 m0, 0xa00, s48                                   // 000000009EC0: 807C30FF 00000A00
	v_mfma_f32_16x16x32_fp8_fp8 v[112:115], a[150:151], a[62:63], v[112:115]// 000000009EC8: D3F30070 1DC27D96
	v_mfma_f32_16x16x32_fp8_fp8 v[116:119], a[144:145], a[64:65], v[116:119]// 000000009ED0: D3F30074 1DD28190
	buffer_load_dword v74, s[20:23], 0 offen lds               // 000000009ED8: E0511000 8005004A
	s_add_u32 m0, 0xb00, s48                                   // 000000009EE0: 807C30FF 00000B00
	v_mfma_f32_16x16x32_fp8_fp8 v[116:119], a[146:147], a[66:67], v[116:119]// 000000009EE8: D3F30074 1DD28592
	v_mfma_f32_16x16x32_fp8_fp8 v[116:119], a[148:149], a[68:69], v[116:119]// 000000009EF0: D3F30074 1DD28994
	buffer_load_dword v75, s[20:23], 0 offen lds               // 000000009EF8: E0511000 8005004B
	s_add_u32 m0, 0xc00, s48                                   // 000000009F00: 807C30FF 00000C00
	v_mfma_f32_16x16x32_fp8_fp8 v[116:119], a[150:151], a[70:71], v[116:119]// 000000009F08: D3F30074 1DD28D96
	s_waitcnt vmcnt(16)                                        // 000000009F10: BF8C4F70
	v_mfma_f32_16x16x32_fp8_fp8 v[120:123], a[152:153], a[0:1], v[120:123]// 000000009F14: D3F30078 1DE20198
	buffer_load_dword v76, s[20:23], 0 offen lds               // 000000009F1C: E0511000 8005004C
	s_add_u32 m0, 0xd00, s48                                   // 000000009F24: 807C30FF 00000D00
	v_mfma_f32_16x16x32_fp8_fp8 v[120:123], a[154:155], a[2:3], v[120:123]// 000000009F2C: D3F30078 1DE2059A
	v_mfma_f32_16x16x32_fp8_fp8 v[120:123], a[156:157], a[4:5], v[120:123]// 000000009F34: D3F30078 1DE2099C
	buffer_load_dword v77, s[20:23], 0 offen lds               // 000000009F3C: E0511000 8005004D
	s_add_u32 m0, 0xe00, s48                                   // 000000009F44: 807C30FF 00000E00
	v_mfma_f32_16x16x32_fp8_fp8 v[120:123], a[158:159], a[6:7], v[120:123]// 000000009F4C: D3F30078 1DE20D9E
	v_mfma_f32_16x16x32_fp8_fp8 v[124:127], a[152:153], a[8:9], v[124:127]// 000000009F54: D3F3007C 1DF21198
	buffer_load_dword v78, s[20:23], 0 offen lds               // 000000009F5C: E0511000 8005004E
	s_add_u32 m0, 0xf00, s48                                   // 000000009F64: 807C30FF 00000F00
	v_mfma_f32_16x16x32_fp8_fp8 v[124:127], a[154:155], a[10:11], v[124:127]// 000000009F6C: D3F3007C 1DF2159A
	v_mfma_f32_16x16x32_fp8_fp8 v[124:127], a[156:157], a[12:13], v[124:127]// 000000009F74: D3F3007C 1DF2199C
	buffer_load_dword v79, s[20:23], 0 offen lds               // 000000009F7C: E0511000 8005004F
	s_add_u32 m0, 0x1000, s48                                  // 000000009F84: 807C30FF 00001000
	v_mfma_f32_16x16x32_fp8_fp8 v[124:127], a[158:159], a[14:15], v[124:127]// 000000009F8C: D3F3007C 1DF21D9E
	v_mfma_f32_16x16x32_fp8_fp8 v[128:131], a[152:153], a[16:17], v[128:131]// 000000009F94: D3F30080 1E022198
	buffer_load_dword v80, s[20:23], 0 offen lds               // 000000009F9C: E0511000 80050050
	s_add_u32 m0, 0x1100, s48                                  // 000000009FA4: 807C30FF 00001100
	v_mfma_f32_16x16x32_fp8_fp8 v[128:131], a[154:155], a[18:19], v[128:131]// 000000009FAC: D3F30080 1E02259A
	v_mfma_f32_16x16x32_fp8_fp8 v[128:131], a[156:157], a[20:21], v[128:131]// 000000009FB4: D3F30080 1E02299C
	buffer_load_dword v81, s[20:23], 0 offen lds               // 000000009FBC: E0511000 80050051
	s_add_u32 m0, 0, s49                                       // 000000009FC4: 807C3180
	v_mfma_f32_16x16x32_fp8_fp8 v[128:131], a[158:159], a[22:23], v[128:131]// 000000009FC8: D3F30080 1E022D9E
	v_mfma_f32_16x16x32_fp8_fp8 v[132:135], a[152:153], a[24:25], v[132:135]// 000000009FD0: D3F30084 1E123198
	v_mfma_f32_16x16x32_fp8_fp8 v[132:135], a[154:155], a[26:27], v[132:135]// 000000009FD8: D3F30084 1E12359A
	v_mfma_f32_16x16x32_fp8_fp8 v[132:135], a[156:157], a[28:29], v[132:135]// 000000009FE0: D3F30084 1E12399C
	v_mfma_f32_16x16x32_fp8_fp8 v[132:135], a[158:159], a[30:31], v[132:135]// 000000009FE8: D3F30084 1E123D9E
	v_mfma_f32_16x16x32_fp8_fp8 v[136:139], a[152:153], a[32:33], v[136:139]// 000000009FF0: D3F30088 1E224198
	v_mfma_f32_16x16x32_fp8_fp8 v[136:139], a[154:155], a[34:35], v[136:139]// 000000009FF8: D3F30088 1E22459A
	v_mfma_f32_16x16x32_fp8_fp8 v[136:139], a[156:157], a[36:37], v[136:139]// 00000000A000: D3F30088 1E22499C
	v_mfma_f32_16x16x32_fp8_fp8 v[136:139], a[158:159], a[38:39], v[136:139]// 00000000A008: D3F30088 1E224D9E
	v_mfma_f32_16x16x32_fp8_fp8 v[140:143], a[152:153], a[40:41], v[140:143]// 00000000A010: D3F3008C 1E325198
	v_mfma_f32_16x16x32_fp8_fp8 v[140:143], a[154:155], a[42:43], v[140:143]// 00000000A018: D3F3008C 1E32559A
	v_mfma_f32_16x16x32_fp8_fp8 v[140:143], a[156:157], a[44:45], v[140:143]// 00000000A020: D3F3008C 1E32599C
	v_mfma_f32_16x16x32_fp8_fp8 v[140:143], a[158:159], a[46:47], v[140:143]// 00000000A028: D3F3008C 1E325D9E
	v_mfma_f32_16x16x32_fp8_fp8 v[144:147], a[152:153], a[48:49], v[144:147]// 00000000A030: D3F30090 1E426198
	v_mfma_f32_16x16x32_fp8_fp8 v[144:147], a[154:155], a[50:51], v[144:147]// 00000000A038: D3F30090 1E42659A
	v_mfma_f32_16x16x32_fp8_fp8 v[144:147], a[156:157], a[52:53], v[144:147]// 00000000A040: D3F30090 1E42699C
	v_mfma_f32_16x16x32_fp8_fp8 v[144:147], a[158:159], a[54:55], v[144:147]// 00000000A048: D3F30090 1E426D9E
	v_mfma_f32_16x16x32_fp8_fp8 v[148:151], a[152:153], a[56:57], v[148:151]// 00000000A050: D3F30094 1E527198
	v_mfma_f32_16x16x32_fp8_fp8 v[148:151], a[154:155], a[58:59], v[148:151]// 00000000A058: D3F30094 1E52759A
	v_mfma_f32_16x16x32_fp8_fp8 v[148:151], a[156:157], a[60:61], v[148:151]// 00000000A060: D3F30094 1E52799C
	v_mfma_f32_16x16x32_fp8_fp8 v[148:151], a[158:159], a[62:63], v[148:151]// 00000000A068: D3F30094 1E527D9E
	v_mfma_f32_16x16x32_fp8_fp8 v[152:155], a[152:153], a[64:65], v[152:155]// 00000000A070: D3F30098 1E628198
	v_mfma_f32_16x16x32_fp8_fp8 v[152:155], a[154:155], a[66:67], v[152:155]// 00000000A078: D3F30098 1E62859A
	s_add_u32 s60, 0x80, s80                                   // 00000000A080: 803C50FF 00000080
	s_cmp_lt_u32 s60, s81                                      // 00000000A088: BF0A513C
	s_cselect_b32 s83, s83, 0                                  // 00000000A08C: 85538053
	v_mfma_f32_16x16x32_fp8_fp8 v[152:155], a[156:157], a[68:69], v[152:155]// 00000000A090: D3F30098 1E62899C
	v_mfma_f32_16x16x32_fp8_fp8 v[152:155], a[158:159], a[70:71], v[152:155]// 00000000A098: D3F30098 1E628D9E
	s_waitcnt vmcnt(18)                                        // 00000000A0A0: BF8C4F72
	v_mfma_f32_16x16x32_fp8_fp8 v[156:159], a[160:161], a[0:1], v[156:159]// 00000000A0A4: D3F3009C 1E7201A0
	buffer_load_dwordx4 a[144:147], v82, s[24:27], 0 offen     // 00000000A0AC: E05C1000 80869052
	v_mfma_f32_16x16x32_fp8_fp8 v[156:159], a[162:163], a[2:3], v[156:159]// 00000000A0B4: D3F3009C 1E7205A2
	v_mfma_f32_16x16x32_fp8_fp8 v[156:159], a[164:165], a[4:5], v[156:159]// 00000000A0BC: D3F3009C 1E7209A4
	ds_read_b128 a[72:75], v2 offset:18560                     // 00000000A0C4: DBFE4880 48000002
	ds_read_b128 a[76:79], v2 offset:18624                     // 00000000A0CC: DBFE48C0 4C000002
	v_mfma_f32_16x16x32_fp8_fp8 v[156:159], a[166:167], a[6:7], v[156:159]// 00000000A0D4: D3F3009C 1E720DA6
	v_mfma_f32_16x16x32_fp8_fp8 v[192:195], a[168:169], a[0:1], v[192:195]// 00000000A0DC: D3F300C0 1F0201A8
	buffer_load_dwordx4 a[148:151], v82, s[24:27], 0 offen offset:1024// 00000000A0E4: E05C1400 80869452
	v_mfma_f32_16x16x32_fp8_fp8 v[192:195], a[170:171], a[2:3], v[192:195]// 00000000A0EC: D3F300C0 1F0205AA
	v_mfma_f32_16x16x32_fp8_fp8 v[192:195], a[172:173], a[4:5], v[192:195]// 00000000A0F4: D3F300C0 1F0209AC
	ds_read_b128 a[80:83], v2 offset:19072                     // 00000000A0FC: DBFE4A80 50000002
	ds_read_b128 a[84:87], v2 offset:19136                     // 00000000A104: DBFE4AC0 54000002
	v_mfma_f32_16x16x32_fp8_fp8 v[192:195], a[174:175], a[6:7], v[192:195]// 00000000A10C: D3F300C0 1F020DAE
	v_mfma_f32_16x16x32_fp8_fp8 v[160:163], a[160:161], a[8:9], v[160:163]// 00000000A114: D3F300A0 1E8211A0
	buffer_load_dwordx4 a[152:155], v83, s[24:27], 0 offen     // 00000000A11C: E05C1000 80869853
	v_mfma_f32_16x16x32_fp8_fp8 v[160:163], a[162:163], a[10:11], v[160:163]// 00000000A124: D3F300A0 1E8215A2
	v_mfma_f32_16x16x32_fp8_fp8 v[160:163], a[164:165], a[12:13], v[160:163]// 00000000A12C: D3F300A0 1E8219A4
	ds_read_b128 a[88:91], v2 offset:19584                     // 00000000A134: DBFE4C80 58000002
	ds_read_b128 a[92:95], v2 offset:19648                     // 00000000A13C: DBFE4CC0 5C000002
	v_mfma_f32_16x16x32_fp8_fp8 v[160:163], a[166:167], a[14:15], v[160:163]// 00000000A144: D3F300A0 1E821DA6
	v_mfma_f32_16x16x32_fp8_fp8 v[196:199], a[168:169], a[8:9], v[196:199]// 00000000A14C: D3F300C4 1F1211A8
	buffer_load_dwordx4 a[156:159], v83, s[24:27], 0 offen offset:1024// 00000000A154: E05C1400 80869C53
	v_mfma_f32_16x16x32_fp8_fp8 v[196:199], a[170:171], a[10:11], v[196:199]// 00000000A15C: D3F300C4 1F1215AA
	v_mfma_f32_16x16x32_fp8_fp8 v[196:199], a[172:173], a[12:13], v[196:199]// 00000000A164: D3F300C4 1F1219AC
	ds_read_b128 a[96:99], v2 offset:20096                     // 00000000A16C: DBFE4E80 60000002
	ds_read_b128 a[100:103], v2 offset:20160                   // 00000000A174: DBFE4EC0 64000002
	v_mfma_f32_16x16x32_fp8_fp8 v[196:199], a[174:175], a[14:15], v[196:199]// 00000000A17C: D3F300C4 1F121DAE
	v_mfma_f32_16x16x32_fp8_fp8 v[164:167], a[160:161], a[16:17], v[164:167]// 00000000A184: D3F300A4 1E9221A0
	v_mfma_f32_16x16x32_fp8_fp8 v[164:167], a[162:163], a[18:19], v[164:167]// 00000000A18C: D3F300A4 1E9225A2
	v_mfma_f32_16x16x32_fp8_fp8 v[164:167], a[164:165], a[20:21], v[164:167]// 00000000A194: D3F300A4 1E9229A4
	ds_read_b128 a[104:107], v2 offset:20608                   // 00000000A19C: DBFE5080 68000002
	ds_read_b128 a[108:111], v2 offset:20672                   // 00000000A1A4: DBFE50C0 6C000002
	v_mfma_f32_16x16x32_fp8_fp8 v[164:167], a[166:167], a[22:23], v[164:167]// 00000000A1AC: D3F300A4 1E922DA6
	v_mfma_f32_16x16x32_fp8_fp8 v[200:203], a[168:169], a[16:17], v[200:203]// 00000000A1B4: D3F300C8 1F2221A8
	v_mfma_f32_16x16x32_fp8_fp8 v[200:203], a[170:171], a[18:19], v[200:203]// 00000000A1BC: D3F300C8 1F2225AA
	v_mfma_f32_16x16x32_fp8_fp8 v[200:203], a[172:173], a[20:21], v[200:203]// 00000000A1C4: D3F300C8 1F2229AC
	ds_read_b128 a[112:115], v2 offset:21120                   // 00000000A1CC: DBFE5280 70000002
	ds_read_b128 a[116:119], v2 offset:21184                   // 00000000A1D4: DBFE52C0 74000002
	v_mfma_f32_16x16x32_fp8_fp8 v[200:203], a[174:175], a[22:23], v[200:203]// 00000000A1DC: D3F300C8 1F222DAE
	v_mfma_f32_16x16x32_fp8_fp8 v[168:171], a[160:161], a[24:25], v[168:171]// 00000000A1E4: D3F300A8 1EA231A0
	v_mfma_f32_16x16x32_fp8_fp8 v[168:171], a[162:163], a[26:27], v[168:171]// 00000000A1EC: D3F300A8 1EA235A2
	v_mfma_f32_16x16x32_fp8_fp8 v[168:171], a[164:165], a[28:29], v[168:171]// 00000000A1F4: D3F300A8 1EA239A4
	ds_read_b128 a[120:123], v2 offset:21632                   // 00000000A1FC: DBFE5480 78000002
	ds_read_b128 a[124:127], v2 offset:21696                   // 00000000A204: DBFE54C0 7C000002
	v_mfma_f32_16x16x32_fp8_fp8 v[168:171], a[166:167], a[30:31], v[168:171]// 00000000A20C: D3F300A8 1EA23DA6
	v_mfma_f32_16x16x32_fp8_fp8 v[204:207], a[168:169], a[24:25], v[204:207]// 00000000A214: D3F300CC 1F3231A8
	v_mfma_f32_16x16x32_fp8_fp8 v[204:207], a[170:171], a[26:27], v[204:207]// 00000000A21C: D3F300CC 1F3235AA
	v_mfma_f32_16x16x32_fp8_fp8 v[204:207], a[172:173], a[28:29], v[204:207]// 00000000A224: D3F300CC 1F3239AC
	ds_read_b128 a[128:131], v2 offset:22144                   // 00000000A22C: DBFE5680 80000002
	ds_read_b128 a[132:135], v2 offset:22208                   // 00000000A234: DBFE56C0 84000002
	v_mfma_f32_16x16x32_fp8_fp8 v[204:207], a[174:175], a[30:31], v[204:207]// 00000000A23C: D3F300CC 1F323DAE
	v_mfma_f32_16x16x32_fp8_fp8 v[172:175], a[160:161], a[32:33], v[172:175]// 00000000A244: D3F300AC 1EB241A0
	v_mfma_f32_16x16x32_fp8_fp8 v[172:175], a[162:163], a[34:35], v[172:175]// 00000000A24C: D3F300AC 1EB245A2
	v_mfma_f32_16x16x32_fp8_fp8 v[172:175], a[164:165], a[36:37], v[172:175]// 00000000A254: D3F300AC 1EB249A4
	ds_read_b128 a[136:139], v2 offset:22656                   // 00000000A25C: DBFE5880 88000002
	ds_read_b128 a[140:143], v2 offset:22720                   // 00000000A264: DBFE58C0 8C000002
	v_mfma_f32_16x16x32_fp8_fp8 v[172:175], a[166:167], a[38:39], v[172:175]// 00000000A26C: D3F300AC 1EB24DA6
	v_mfma_f32_16x16x32_fp8_fp8 v[208:211], a[168:169], a[32:33], v[208:211]// 00000000A274: D3F300D0 1F4241A8
	v_mfma_f32_16x16x32_fp8_fp8 v[208:211], a[170:171], a[34:35], v[208:211]// 00000000A27C: D3F300D0 1F4245AA
	v_mfma_f32_16x16x32_fp8_fp8 v[208:211], a[172:173], a[36:37], v[208:211]// 00000000A284: D3F300D0 1F4249AC
	v_mfma_f32_16x16x32_fp8_fp8 v[208:211], a[174:175], a[38:39], v[208:211]// 00000000A28C: D3F300D0 1F424DAE
	v_mfma_f32_16x16x32_fp8_fp8 v[176:179], a[160:161], a[40:41], v[176:179]// 00000000A294: D3F300B0 1EC251A0
	v_mfma_f32_16x16x32_fp8_fp8 v[176:179], a[162:163], a[42:43], v[176:179]// 00000000A29C: D3F300B0 1EC255A2
	v_mfma_f32_16x16x32_fp8_fp8 v[176:179], a[164:165], a[44:45], v[176:179]// 00000000A2A4: D3F300B0 1EC259A4
	v_mfma_f32_16x16x32_fp8_fp8 v[176:179], a[166:167], a[46:47], v[176:179]// 00000000A2AC: D3F300B0 1EC25DA6
	v_mfma_f32_16x16x32_fp8_fp8 v[212:215], a[168:169], a[40:41], v[212:215]// 00000000A2B4: D3F300D4 1F5251A8
	v_mfma_f32_16x16x32_fp8_fp8 v[212:215], a[170:171], a[42:43], v[212:215]// 00000000A2BC: D3F300D4 1F5255AA
	v_mfma_f32_16x16x32_fp8_fp8 v[212:215], a[172:173], a[44:45], v[212:215]// 00000000A2C4: D3F300D4 1F5259AC
	v_mfma_f32_16x16x32_fp8_fp8 v[212:215], a[174:175], a[46:47], v[212:215]// 00000000A2CC: D3F300D4 1F525DAE
	v_mfma_f32_16x16x32_fp8_fp8 v[180:183], a[160:161], a[48:49], v[180:183]// 00000000A2D4: D3F300B4 1ED261A0
	v_mfma_f32_16x16x32_fp8_fp8 v[180:183], a[162:163], a[50:51], v[180:183]// 00000000A2DC: D3F300B4 1ED265A2
	v_mfma_f32_16x16x32_fp8_fp8 v[180:183], a[164:165], a[52:53], v[180:183]// 00000000A2E4: D3F300B4 1ED269A4
	v_mfma_f32_16x16x32_fp8_fp8 v[180:183], a[166:167], a[54:55], v[180:183]// 00000000A2EC: D3F300B4 1ED26DA6
	v_mfma_f32_16x16x32_fp8_fp8 v[216:219], a[168:169], a[48:49], v[216:219]// 00000000A2F4: D3F300D8 1F6261A8
	v_mfma_f32_16x16x32_fp8_fp8 v[216:219], a[170:171], a[50:51], v[216:219]// 00000000A2FC: D3F300D8 1F6265AA
	v_mfma_f32_16x16x32_fp8_fp8 v[216:219], a[172:173], a[52:53], v[216:219]// 00000000A304: D3F300D8 1F6269AC
	v_mfma_f32_16x16x32_fp8_fp8 v[216:219], a[174:175], a[54:55], v[216:219]// 00000000A30C: D3F300D8 1F626DAE
	v_mfma_f32_16x16x32_fp8_fp8 v[184:187], a[160:161], a[56:57], v[184:187]// 00000000A314: D3F300B8 1EE271A0
	v_mfma_f32_16x16x32_fp8_fp8 v[184:187], a[162:163], a[58:59], v[184:187]// 00000000A31C: D3F300B8 1EE275A2
	v_mfma_f32_16x16x32_fp8_fp8 v[184:187], a[164:165], a[60:61], v[184:187]// 00000000A324: D3F300B8 1EE279A4
	v_mfma_f32_16x16x32_fp8_fp8 v[184:187], a[166:167], a[62:63], v[184:187]// 00000000A32C: D3F300B8 1EE27DA6
	v_mfma_f32_16x16x32_fp8_fp8 v[220:223], a[168:169], a[56:57], v[220:223]// 00000000A334: D3F300DC 1F7271A8
	v_mfma_f32_16x16x32_fp8_fp8 v[220:223], a[170:171], a[58:59], v[220:223]// 00000000A33C: D3F300DC 1F7275AA
	v_mfma_f32_16x16x32_fp8_fp8 v[220:223], a[172:173], a[60:61], v[220:223]// 00000000A344: D3F300DC 1F7279AC
	v_mfma_f32_16x16x32_fp8_fp8 v[220:223], a[174:175], a[62:63], v[220:223]// 00000000A34C: D3F300DC 1F727DAE
	v_mfma_f32_16x16x32_fp8_fp8 v[188:191], a[160:161], a[64:65], v[188:191]// 00000000A354: D3F300BC 1EF281A0
	v_mfma_f32_16x16x32_fp8_fp8 v[188:191], a[162:163], a[66:67], v[188:191]// 00000000A35C: D3F300BC 1EF285A2
	v_mfma_f32_16x16x32_fp8_fp8 v[188:191], a[164:165], a[68:69], v[188:191]// 00000000A364: D3F300BC 1EF289A4
	s_add_u32 s60, 0x180, s80                                  // 00000000A36C: 803C50FF 00000180
	s_cmp_lt_u32 s60, s81                                      // 00000000A374: BF0A513C
	s_cselect_b32 s57, s57, 0                                  // 00000000A378: 85398039
	v_mfma_f32_16x16x32_fp8_fp8 v[188:191], a[166:167], a[70:71], v[188:191]// 00000000A37C: D3F300BC 1EF28DA6
	s_add_u32 s60, 0x100, s80                                  // 00000000A384: 803C50FF 00000100
	s_cmp_lt_u32 s60, s81                                      // 00000000A38C: BF0A513C
	s_cselect_b32 s58, s58, 0                                  // 00000000A390: 853A803A
	v_mfma_f32_16x16x32_fp8_fp8 v[224:227], a[168:169], a[64:65], v[224:227]// 00000000A394: D3F300E0 1F8281A8
	s_add_u32 s24, s58, s24                                    // 00000000A39C: 8018183A
	s_addc_u32 s25, 0, s25                                     // 00000000A3A0: 82191980
	v_mfma_f32_16x16x32_fp8_fp8 v[224:227], a[170:171], a[66:67], v[224:227]// 00000000A3A4: D3F300E0 1F8285AA
	s_add_u32 s20, s57, s20                                    // 00000000A3AC: 80141439
	s_addc_u32 s21, 0, s21                                     // 00000000A3B0: 82151580
	v_mfma_f32_16x16x32_fp8_fp8 v[224:227], a[172:173], a[68:69], v[224:227]// 00000000A3B4: D3F300E0 1F8289AC
	s_add_u32 s84, s83, s84                                    // 00000000A3BC: 80545453
	s_addc_u32 s85, 0, s85                                     // 00000000A3C0: 82555580
	v_mfma_f32_16x16x32_fp8_fp8 v[224:227], a[174:175], a[70:71], v[224:227]// 00000000A3C4: D3F300E0 1F828DAE
	s_addk_i32 s80, 0x80                                       // 00000000A3CC: B7500080
	s_cmp_lt_i32 s80, s81                                      // 00000000A3D0: BF045150
	s_cbranch_scc0 label_202E                                  // 00000000A3D4: BF8401B5
	s_waitcnt vmcnt(2) lgkmcnt(0)                              // 00000000A3D8: BF8C0072
	s_barrier                                                  // 00000000A3DC: BF8A0000
	v_mfma_f32_16x16x32_fp8_fp8 v[84:87], a[144:145], a[72:73], v[84:87]// 00000000A3E0: D3F30054 1D529190
	buffer_load_dwordx4 a[160:163], v82, s[84:87], 0 offen     // 00000000A3E8: E05C1000 8095A052
	v_mfma_f32_16x16x32_fp8_fp8 v[84:87], a[146:147], a[74:75], v[84:87]// 00000000A3F0: D3F30054 1D529592
	v_mfma_f32_16x16x32_fp8_fp8 v[84:87], a[148:149], a[76:77], v[84:87]// 00000000A3F8: D3F30054 1D529994
	v_mfma_f32_16x16x32_fp8_fp8 v[84:87], a[150:151], a[78:79], v[84:87]// 00000000A400: D3F30054 1D529D96
	v_mfma_f32_16x16x32_fp8_fp8 v[88:91], a[144:145], a[80:81], v[88:91]// 00000000A408: D3F30058 1D62A190
	buffer_load_dwordx4 a[164:167], v82, s[84:87], 0 offen offset:1024// 00000000A410: E05C1400 8095A452
	v_mfma_f32_16x16x32_fp8_fp8 v[88:91], a[146:147], a[82:83], v[88:91]// 00000000A418: D3F30058 1D62A592
	v_mfma_f32_16x16x32_fp8_fp8 v[88:91], a[148:149], a[84:85], v[88:91]// 00000000A420: D3F30058 1D62A994
	v_mfma_f32_16x16x32_fp8_fp8 v[88:91], a[150:151], a[86:87], v[88:91]// 00000000A428: D3F30058 1D62AD96
	v_mfma_f32_16x16x32_fp8_fp8 v[92:95], a[144:145], a[88:89], v[92:95]// 00000000A430: D3F3005C 1D72B190
	buffer_load_dwordx4 a[168:171], v83, s[84:87], 0 offen     // 00000000A438: E05C1000 8095A853
	v_mfma_f32_16x16x32_fp8_fp8 v[92:95], a[146:147], a[90:91], v[92:95]// 00000000A440: D3F3005C 1D72B592
	v_mfma_f32_16x16x32_fp8_fp8 v[92:95], a[148:149], a[92:93], v[92:95]// 00000000A448: D3F3005C 1D72B994
	v_mfma_f32_16x16x32_fp8_fp8 v[92:95], a[150:151], a[94:95], v[92:95]// 00000000A450: D3F3005C 1D72BD96
	v_mfma_f32_16x16x32_fp8_fp8 v[96:99], a[144:145], a[96:97], v[96:99]// 00000000A458: D3F30060 1D82C190
	buffer_load_dwordx4 a[172:175], v83, s[84:87], 0 offen offset:1024// 00000000A460: E05C1400 8095AC53
	buffer_load_dword v64, s[20:23], 0 offen lds               // 00000000A468: E0511000 80050040
	s_add_u32 m0, 0x100, s49                                   // 00000000A470: 807C31FF 00000100
	v_mfma_f32_16x16x32_fp8_fp8 v[96:99], a[146:147], a[98:99], v[96:99]// 00000000A478: D3F30060 1D82C592
	v_mfma_f32_16x16x32_fp8_fp8 v[96:99], a[148:149], a[100:101], v[96:99]// 00000000A480: D3F30060 1D82C994
	buffer_load_dword v65, s[20:23], 0 offen lds               // 00000000A488: E0511000 80050041
	s_add_u32 m0, 0x200, s49                                   // 00000000A490: 807C31FF 00000200
	v_mfma_f32_16x16x32_fp8_fp8 v[96:99], a[150:151], a[102:103], v[96:99]// 00000000A498: D3F30060 1D82CD96
	v_mfma_f32_16x16x32_fp8_fp8 v[100:103], a[144:145], a[104:105], v[100:103]// 00000000A4A0: D3F30064 1D92D190
	buffer_load_dword v66, s[20:23], 0 offen lds               // 00000000A4A8: E0511000 80050042
	s_add_u32 m0, 0x300, s49                                   // 00000000A4B0: 807C31FF 00000300
	v_mfma_f32_16x16x32_fp8_fp8 v[100:103], a[146:147], a[106:107], v[100:103]// 00000000A4B8: D3F30064 1D92D592
	v_mfma_f32_16x16x32_fp8_fp8 v[100:103], a[148:149], a[108:109], v[100:103]// 00000000A4C0: D3F30064 1D92D994
	buffer_load_dword v67, s[20:23], 0 offen lds               // 00000000A4C8: E0511000 80050043
	s_add_u32 m0, 0x400, s49                                   // 00000000A4D0: 807C31FF 00000400
	v_mfma_f32_16x16x32_fp8_fp8 v[100:103], a[150:151], a[110:111], v[100:103]// 00000000A4D8: D3F30064 1D92DD96
	v_mfma_f32_16x16x32_fp8_fp8 v[104:107], a[144:145], a[112:113], v[104:107]// 00000000A4E0: D3F30068 1DA2E190
	buffer_load_dword v68, s[20:23], 0 offen lds               // 00000000A4E8: E0511000 80050044
	s_add_u32 m0, 0x500, s49                                   // 00000000A4F0: 807C31FF 00000500
	v_mfma_f32_16x16x32_fp8_fp8 v[104:107], a[146:147], a[114:115], v[104:107]// 00000000A4F8: D3F30068 1DA2E592
	v_mfma_f32_16x16x32_fp8_fp8 v[104:107], a[148:149], a[116:117], v[104:107]// 00000000A500: D3F30068 1DA2E994
	buffer_load_dword v69, s[20:23], 0 offen lds               // 00000000A508: E0511000 80050045
	s_add_u32 m0, 0x600, s49                                   // 00000000A510: 807C31FF 00000600
	v_mfma_f32_16x16x32_fp8_fp8 v[104:107], a[150:151], a[118:119], v[104:107]// 00000000A518: D3F30068 1DA2ED96
	v_mfma_f32_16x16x32_fp8_fp8 v[108:111], a[144:145], a[120:121], v[108:111]// 00000000A520: D3F3006C 1DB2F190
	buffer_load_dword v70, s[20:23], 0 offen lds               // 00000000A528: E0511000 80050046
	s_add_u32 m0, 0x700, s49                                   // 00000000A530: 807C31FF 00000700
	v_mfma_f32_16x16x32_fp8_fp8 v[108:111], a[146:147], a[122:123], v[108:111]// 00000000A538: D3F3006C 1DB2F592
	v_mfma_f32_16x16x32_fp8_fp8 v[108:111], a[148:149], a[124:125], v[108:111]// 00000000A540: D3F3006C 1DB2F994
	buffer_load_dword v71, s[20:23], 0 offen lds               // 00000000A548: E0511000 80050047
	s_add_u32 m0, 0x800, s49                                   // 00000000A550: 807C31FF 00000800
	v_mfma_f32_16x16x32_fp8_fp8 v[108:111], a[150:151], a[126:127], v[108:111]// 00000000A558: D3F3006C 1DB2FD96
	v_mfma_f32_16x16x32_fp8_fp8 v[112:115], a[144:145], a[128:129], v[112:115]// 00000000A560: D3F30070 1DC30190
	buffer_load_dword v72, s[20:23], 0 offen lds               // 00000000A568: E0511000 80050048
	s_add_u32 m0, 0x900, s49                                   // 00000000A570: 807C31FF 00000900
	v_mfma_f32_16x16x32_fp8_fp8 v[112:115], a[146:147], a[130:131], v[112:115]// 00000000A578: D3F30070 1DC30592
	v_mfma_f32_16x16x32_fp8_fp8 v[112:115], a[148:149], a[132:133], v[112:115]// 00000000A580: D3F30070 1DC30994
	buffer_load_dword v73, s[20:23], 0 offen lds               // 00000000A588: E0511000 80050049
	s_add_u32 m0, 0xa00, s49                                   // 00000000A590: 807C31FF 00000A00
	v_mfma_f32_16x16x32_fp8_fp8 v[112:115], a[150:151], a[134:135], v[112:115]// 00000000A598: D3F30070 1DC30D96
	v_mfma_f32_16x16x32_fp8_fp8 v[116:119], a[144:145], a[136:137], v[116:119]// 00000000A5A0: D3F30074 1DD31190
	buffer_load_dword v74, s[20:23], 0 offen lds               // 00000000A5A8: E0511000 8005004A
	s_add_u32 m0, 0xb00, s49                                   // 00000000A5B0: 807C31FF 00000B00
	v_mfma_f32_16x16x32_fp8_fp8 v[116:119], a[146:147], a[138:139], v[116:119]// 00000000A5B8: D3F30074 1DD31592
	v_mfma_f32_16x16x32_fp8_fp8 v[116:119], a[148:149], a[140:141], v[116:119]// 00000000A5C0: D3F30074 1DD31994
	buffer_load_dword v75, s[20:23], 0 offen lds               // 00000000A5C8: E0511000 8005004B
	s_add_u32 m0, 0xc00, s49                                   // 00000000A5D0: 807C31FF 00000C00
	v_mfma_f32_16x16x32_fp8_fp8 v[116:119], a[150:151], a[142:143], v[116:119]// 00000000A5D8: D3F30074 1DD31D96
	s_waitcnt vmcnt(16)                                        // 00000000A5E0: BF8C4F70
	v_mfma_f32_16x16x32_fp8_fp8 v[120:123], a[152:153], a[72:73], v[120:123]// 00000000A5E4: D3F30078 1DE29198
	buffer_load_dword v76, s[20:23], 0 offen lds               // 00000000A5EC: E0511000 8005004C
	s_add_u32 m0, 0xd00, s49                                   // 00000000A5F4: 807C31FF 00000D00
	v_mfma_f32_16x16x32_fp8_fp8 v[120:123], a[154:155], a[74:75], v[120:123]// 00000000A5FC: D3F30078 1DE2959A
	v_mfma_f32_16x16x32_fp8_fp8 v[120:123], a[156:157], a[76:77], v[120:123]// 00000000A604: D3F30078 1DE2999C
	buffer_load_dword v77, s[20:23], 0 offen lds               // 00000000A60C: E0511000 8005004D
	s_add_u32 m0, 0xe00, s49                                   // 00000000A614: 807C31FF 00000E00
	v_mfma_f32_16x16x32_fp8_fp8 v[120:123], a[158:159], a[78:79], v[120:123]// 00000000A61C: D3F30078 1DE29D9E
	v_mfma_f32_16x16x32_fp8_fp8 v[124:127], a[152:153], a[80:81], v[124:127]// 00000000A624: D3F3007C 1DF2A198
	buffer_load_dword v78, s[20:23], 0 offen lds               // 00000000A62C: E0511000 8005004E
	s_add_u32 m0, 0xf00, s49                                   // 00000000A634: 807C31FF 00000F00
	v_mfma_f32_16x16x32_fp8_fp8 v[124:127], a[154:155], a[82:83], v[124:127]// 00000000A63C: D3F3007C 1DF2A59A
	v_mfma_f32_16x16x32_fp8_fp8 v[124:127], a[156:157], a[84:85], v[124:127]// 00000000A644: D3F3007C 1DF2A99C
	buffer_load_dword v79, s[20:23], 0 offen lds               // 00000000A64C: E0511000 8005004F
	s_add_u32 m0, 0x1000, s49                                  // 00000000A654: 807C31FF 00001000
	v_mfma_f32_16x16x32_fp8_fp8 v[124:127], a[158:159], a[86:87], v[124:127]// 00000000A65C: D3F3007C 1DF2AD9E
	v_mfma_f32_16x16x32_fp8_fp8 v[128:131], a[152:153], a[88:89], v[128:131]// 00000000A664: D3F30080 1E02B198
	buffer_load_dword v80, s[20:23], 0 offen lds               // 00000000A66C: E0511000 80050050
	s_add_u32 m0, 0x1100, s49                                  // 00000000A674: 807C31FF 00001100
	v_mfma_f32_16x16x32_fp8_fp8 v[128:131], a[154:155], a[90:91], v[128:131]// 00000000A67C: D3F30080 1E02B59A
	v_mfma_f32_16x16x32_fp8_fp8 v[128:131], a[156:157], a[92:93], v[128:131]// 00000000A684: D3F30080 1E02B99C
	buffer_load_dword v81, s[20:23], 0 offen lds               // 00000000A68C: E0511000 80050051
	s_add_u32 m0, 0, s48                                       // 00000000A694: 807C3080
	v_mfma_f32_16x16x32_fp8_fp8 v[128:131], a[158:159], a[94:95], v[128:131]// 00000000A698: D3F30080 1E02BD9E
	v_mfma_f32_16x16x32_fp8_fp8 v[132:135], a[152:153], a[96:97], v[132:135]// 00000000A6A0: D3F30084 1E12C198
	v_mfma_f32_16x16x32_fp8_fp8 v[132:135], a[154:155], a[98:99], v[132:135]// 00000000A6A8: D3F30084 1E12C59A
	v_mfma_f32_16x16x32_fp8_fp8 v[132:135], a[156:157], a[100:101], v[132:135]// 00000000A6B0: D3F30084 1E12C99C
	v_mfma_f32_16x16x32_fp8_fp8 v[132:135], a[158:159], a[102:103], v[132:135]// 00000000A6B8: D3F30084 1E12CD9E
	v_mfma_f32_16x16x32_fp8_fp8 v[136:139], a[152:153], a[104:105], v[136:139]// 00000000A6C0: D3F30088 1E22D198
	v_mfma_f32_16x16x32_fp8_fp8 v[136:139], a[154:155], a[106:107], v[136:139]// 00000000A6C8: D3F30088 1E22D59A
	v_mfma_f32_16x16x32_fp8_fp8 v[136:139], a[156:157], a[108:109], v[136:139]// 00000000A6D0: D3F30088 1E22D99C
	v_mfma_f32_16x16x32_fp8_fp8 v[136:139], a[158:159], a[110:111], v[136:139]// 00000000A6D8: D3F30088 1E22DD9E
	v_mfma_f32_16x16x32_fp8_fp8 v[140:143], a[152:153], a[112:113], v[140:143]// 00000000A6E0: D3F3008C 1E32E198
	v_mfma_f32_16x16x32_fp8_fp8 v[140:143], a[154:155], a[114:115], v[140:143]// 00000000A6E8: D3F3008C 1E32E59A
	v_mfma_f32_16x16x32_fp8_fp8 v[140:143], a[156:157], a[116:117], v[140:143]// 00000000A6F0: D3F3008C 1E32E99C
	v_mfma_f32_16x16x32_fp8_fp8 v[140:143], a[158:159], a[118:119], v[140:143]// 00000000A6F8: D3F3008C 1E32ED9E
	v_mfma_f32_16x16x32_fp8_fp8 v[144:147], a[152:153], a[120:121], v[144:147]// 00000000A700: D3F30090 1E42F198
	v_mfma_f32_16x16x32_fp8_fp8 v[144:147], a[154:155], a[122:123], v[144:147]// 00000000A708: D3F30090 1E42F59A
	v_mfma_f32_16x16x32_fp8_fp8 v[144:147], a[156:157], a[124:125], v[144:147]// 00000000A710: D3F30090 1E42F99C
	v_mfma_f32_16x16x32_fp8_fp8 v[144:147], a[158:159], a[126:127], v[144:147]// 00000000A718: D3F30090 1E42FD9E
	v_mfma_f32_16x16x32_fp8_fp8 v[148:151], a[152:153], a[128:129], v[148:151]// 00000000A720: D3F30094 1E530198
	v_mfma_f32_16x16x32_fp8_fp8 v[148:151], a[154:155], a[130:131], v[148:151]// 00000000A728: D3F30094 1E53059A
	v_mfma_f32_16x16x32_fp8_fp8 v[148:151], a[156:157], a[132:133], v[148:151]// 00000000A730: D3F30094 1E53099C
	v_mfma_f32_16x16x32_fp8_fp8 v[148:151], a[158:159], a[134:135], v[148:151]// 00000000A738: D3F30094 1E530D9E
	v_mfma_f32_16x16x32_fp8_fp8 v[152:155], a[152:153], a[136:137], v[152:155]// 00000000A740: D3F30098 1E631198
	v_mfma_f32_16x16x32_fp8_fp8 v[152:155], a[154:155], a[138:139], v[152:155]// 00000000A748: D3F30098 1E63159A
	s_add_u32 s60, 0x80, s80                                   // 00000000A750: 803C50FF 00000080
	s_cmp_lt_u32 s60, s81                                      // 00000000A758: BF0A513C
	s_cselect_b32 s83, s83, 0                                  // 00000000A75C: 85538053
	v_mfma_f32_16x16x32_fp8_fp8 v[152:155], a[156:157], a[140:141], v[152:155]// 00000000A760: D3F30098 1E63199C
	v_mfma_f32_16x16x32_fp8_fp8 v[152:155], a[158:159], a[142:143], v[152:155]// 00000000A768: D3F30098 1E631D9E
	s_waitcnt vmcnt(18)                                        // 00000000A770: BF8C4F72
	v_mfma_f32_16x16x32_fp8_fp8 v[156:159], a[160:161], a[72:73], v[156:159]// 00000000A774: D3F3009C 1E7291A0
	buffer_load_dwordx4 a[144:147], v82, s[24:27], 0 offen     // 00000000A77C: E05C1000 80869052
	v_mfma_f32_16x16x32_fp8_fp8 v[156:159], a[162:163], a[74:75], v[156:159]// 00000000A784: D3F3009C 1E7295A2
	v_mfma_f32_16x16x32_fp8_fp8 v[156:159], a[164:165], a[76:77], v[156:159]// 00000000A78C: D3F3009C 1E7299A4
	ds_read_b128 a[0:3], v2                                    // 00000000A794: DBFE0000 00000002
	ds_read_b128 a[4:7], v2 offset:64                          // 00000000A79C: DBFE0040 04000002
	v_mfma_f32_16x16x32_fp8_fp8 v[156:159], a[166:167], a[78:79], v[156:159]// 00000000A7A4: D3F3009C 1E729DA6
	v_mfma_f32_16x16x32_fp8_fp8 v[192:195], a[168:169], a[72:73], v[192:195]// 00000000A7AC: D3F300C0 1F0291A8
	buffer_load_dwordx4 a[148:151], v82, s[24:27], 0 offen offset:1024// 00000000A7B4: E05C1400 80869452
	v_mfma_f32_16x16x32_fp8_fp8 v[192:195], a[170:171], a[74:75], v[192:195]// 00000000A7BC: D3F300C0 1F0295AA
	v_mfma_f32_16x16x32_fp8_fp8 v[192:195], a[172:173], a[76:77], v[192:195]// 00000000A7C4: D3F300C0 1F0299AC
	ds_read_b128 a[8:11], v2 offset:512                        // 00000000A7CC: DBFE0200 08000002
	ds_read_b128 a[12:15], v2 offset:576                       // 00000000A7D4: DBFE0240 0C000002
	v_mfma_f32_16x16x32_fp8_fp8 v[192:195], a[174:175], a[78:79], v[192:195]// 00000000A7DC: D3F300C0 1F029DAE
	v_mfma_f32_16x16x32_fp8_fp8 v[160:163], a[160:161], a[80:81], v[160:163]// 00000000A7E4: D3F300A0 1E82A1A0
	buffer_load_dwordx4 a[152:155], v83, s[24:27], 0 offen     // 00000000A7EC: E05C1000 80869853
	v_mfma_f32_16x16x32_fp8_fp8 v[160:163], a[162:163], a[82:83], v[160:163]// 00000000A7F4: D3F300A0 1E82A5A2
	v_mfma_f32_16x16x32_fp8_fp8 v[160:163], a[164:165], a[84:85], v[160:163]// 00000000A7FC: D3F300A0 1E82A9A4
	ds_read_b128 a[16:19], v2 offset:1024                      // 00000000A804: DBFE0400 10000002
	ds_read_b128 a[20:23], v2 offset:1088                      // 00000000A80C: DBFE0440 14000002
	v_mfma_f32_16x16x32_fp8_fp8 v[160:163], a[166:167], a[86:87], v[160:163]// 00000000A814: D3F300A0 1E82ADA6
	v_mfma_f32_16x16x32_fp8_fp8 v[196:199], a[168:169], a[80:81], v[196:199]// 00000000A81C: D3F300C4 1F12A1A8
	buffer_load_dwordx4 a[156:159], v83, s[24:27], 0 offen offset:1024// 00000000A824: E05C1400 80869C53
	v_mfma_f32_16x16x32_fp8_fp8 v[196:199], a[170:171], a[82:83], v[196:199]// 00000000A82C: D3F300C4 1F12A5AA
	v_mfma_f32_16x16x32_fp8_fp8 v[196:199], a[172:173], a[84:85], v[196:199]// 00000000A834: D3F300C4 1F12A9AC
	ds_read_b128 a[24:27], v2 offset:1536                      // 00000000A83C: DBFE0600 18000002
	ds_read_b128 a[28:31], v2 offset:1600                      // 00000000A844: DBFE0640 1C000002
	v_mfma_f32_16x16x32_fp8_fp8 v[196:199], a[174:175], a[86:87], v[196:199]// 00000000A84C: D3F300C4 1F12ADAE
	v_mfma_f32_16x16x32_fp8_fp8 v[164:167], a[160:161], a[88:89], v[164:167]// 00000000A854: D3F300A4 1E92B1A0
	v_mfma_f32_16x16x32_fp8_fp8 v[164:167], a[162:163], a[90:91], v[164:167]// 00000000A85C: D3F300A4 1E92B5A2
	v_mfma_f32_16x16x32_fp8_fp8 v[164:167], a[164:165], a[92:93], v[164:167]// 00000000A864: D3F300A4 1E92B9A4
	ds_read_b128 a[32:35], v2 offset:2048                      // 00000000A86C: DBFE0800 20000002
	ds_read_b128 a[36:39], v2 offset:2112                      // 00000000A874: DBFE0840 24000002
	v_mfma_f32_16x16x32_fp8_fp8 v[164:167], a[166:167], a[94:95], v[164:167]// 00000000A87C: D3F300A4 1E92BDA6
	v_mfma_f32_16x16x32_fp8_fp8 v[200:203], a[168:169], a[88:89], v[200:203]// 00000000A884: D3F300C8 1F22B1A8
	v_mfma_f32_16x16x32_fp8_fp8 v[200:203], a[170:171], a[90:91], v[200:203]// 00000000A88C: D3F300C8 1F22B5AA
	v_mfma_f32_16x16x32_fp8_fp8 v[200:203], a[172:173], a[92:93], v[200:203]// 00000000A894: D3F300C8 1F22B9AC
	ds_read_b128 a[40:43], v2 offset:2560                      // 00000000A89C: DBFE0A00 28000002
	ds_read_b128 a[44:47], v2 offset:2624                      // 00000000A8A4: DBFE0A40 2C000002
	v_mfma_f32_16x16x32_fp8_fp8 v[200:203], a[174:175], a[94:95], v[200:203]// 00000000A8AC: D3F300C8 1F22BDAE
	v_mfma_f32_16x16x32_fp8_fp8 v[168:171], a[160:161], a[96:97], v[168:171]// 00000000A8B4: D3F300A8 1EA2C1A0
	v_mfma_f32_16x16x32_fp8_fp8 v[168:171], a[162:163], a[98:99], v[168:171]// 00000000A8BC: D3F300A8 1EA2C5A2
	v_mfma_f32_16x16x32_fp8_fp8 v[168:171], a[164:165], a[100:101], v[168:171]// 00000000A8C4: D3F300A8 1EA2C9A4
	ds_read_b128 a[48:51], v2 offset:3072                      // 00000000A8CC: DBFE0C00 30000002
	ds_read_b128 a[52:55], v2 offset:3136                      // 00000000A8D4: DBFE0C40 34000002
	v_mfma_f32_16x16x32_fp8_fp8 v[168:171], a[166:167], a[102:103], v[168:171]// 00000000A8DC: D3F300A8 1EA2CDA6
	v_mfma_f32_16x16x32_fp8_fp8 v[204:207], a[168:169], a[96:97], v[204:207]// 00000000A8E4: D3F300CC 1F32C1A8
	v_mfma_f32_16x16x32_fp8_fp8 v[204:207], a[170:171], a[98:99], v[204:207]// 00000000A8EC: D3F300CC 1F32C5AA
	v_mfma_f32_16x16x32_fp8_fp8 v[204:207], a[172:173], a[100:101], v[204:207]// 00000000A8F4: D3F300CC 1F32C9AC
	ds_read_b128 a[56:59], v2 offset:3584                      // 00000000A8FC: DBFE0E00 38000002
	ds_read_b128 a[60:63], v2 offset:3648                      // 00000000A904: DBFE0E40 3C000002
	v_mfma_f32_16x16x32_fp8_fp8 v[204:207], a[174:175], a[102:103], v[204:207]// 00000000A90C: D3F300CC 1F32CDAE
	v_mfma_f32_16x16x32_fp8_fp8 v[172:175], a[160:161], a[104:105], v[172:175]// 00000000A914: D3F300AC 1EB2D1A0
	v_mfma_f32_16x16x32_fp8_fp8 v[172:175], a[162:163], a[106:107], v[172:175]// 00000000A91C: D3F300AC 1EB2D5A2
	v_mfma_f32_16x16x32_fp8_fp8 v[172:175], a[164:165], a[108:109], v[172:175]// 00000000A924: D3F300AC 1EB2D9A4
	ds_read_b128 a[64:67], v2 offset:4096                      // 00000000A92C: DBFE1000 40000002
	ds_read_b128 a[68:71], v2 offset:4160                      // 00000000A934: DBFE1040 44000002
	v_mfma_f32_16x16x32_fp8_fp8 v[172:175], a[166:167], a[110:111], v[172:175]// 00000000A93C: D3F300AC 1EB2DDA6
	v_mfma_f32_16x16x32_fp8_fp8 v[208:211], a[168:169], a[104:105], v[208:211]// 00000000A944: D3F300D0 1F42D1A8
	v_mfma_f32_16x16x32_fp8_fp8 v[208:211], a[170:171], a[106:107], v[208:211]// 00000000A94C: D3F300D0 1F42D5AA
	v_mfma_f32_16x16x32_fp8_fp8 v[208:211], a[172:173], a[108:109], v[208:211]// 00000000A954: D3F300D0 1F42D9AC
	v_mfma_f32_16x16x32_fp8_fp8 v[208:211], a[174:175], a[110:111], v[208:211]// 00000000A95C: D3F300D0 1F42DDAE
	v_mfma_f32_16x16x32_fp8_fp8 v[176:179], a[160:161], a[112:113], v[176:179]// 00000000A964: D3F300B0 1EC2E1A0
	v_mfma_f32_16x16x32_fp8_fp8 v[176:179], a[162:163], a[114:115], v[176:179]// 00000000A96C: D3F300B0 1EC2E5A2
	v_mfma_f32_16x16x32_fp8_fp8 v[176:179], a[164:165], a[116:117], v[176:179]// 00000000A974: D3F300B0 1EC2E9A4
	v_mfma_f32_16x16x32_fp8_fp8 v[176:179], a[166:167], a[118:119], v[176:179]// 00000000A97C: D3F300B0 1EC2EDA6
	v_mfma_f32_16x16x32_fp8_fp8 v[212:215], a[168:169], a[112:113], v[212:215]// 00000000A984: D3F300D4 1F52E1A8
	v_mfma_f32_16x16x32_fp8_fp8 v[212:215], a[170:171], a[114:115], v[212:215]// 00000000A98C: D3F300D4 1F52E5AA
	v_mfma_f32_16x16x32_fp8_fp8 v[212:215], a[172:173], a[116:117], v[212:215]// 00000000A994: D3F300D4 1F52E9AC
	v_mfma_f32_16x16x32_fp8_fp8 v[212:215], a[174:175], a[118:119], v[212:215]// 00000000A99C: D3F300D4 1F52EDAE
	v_mfma_f32_16x16x32_fp8_fp8 v[180:183], a[160:161], a[120:121], v[180:183]// 00000000A9A4: D3F300B4 1ED2F1A0
	v_mfma_f32_16x16x32_fp8_fp8 v[180:183], a[162:163], a[122:123], v[180:183]// 00000000A9AC: D3F300B4 1ED2F5A2
	v_mfma_f32_16x16x32_fp8_fp8 v[180:183], a[164:165], a[124:125], v[180:183]// 00000000A9B4: D3F300B4 1ED2F9A4
	v_mfma_f32_16x16x32_fp8_fp8 v[180:183], a[166:167], a[126:127], v[180:183]// 00000000A9BC: D3F300B4 1ED2FDA6
	v_mfma_f32_16x16x32_fp8_fp8 v[216:219], a[168:169], a[120:121], v[216:219]// 00000000A9C4: D3F300D8 1F62F1A8
	v_mfma_f32_16x16x32_fp8_fp8 v[216:219], a[170:171], a[122:123], v[216:219]// 00000000A9CC: D3F300D8 1F62F5AA
	v_mfma_f32_16x16x32_fp8_fp8 v[216:219], a[172:173], a[124:125], v[216:219]// 00000000A9D4: D3F300D8 1F62F9AC
	v_mfma_f32_16x16x32_fp8_fp8 v[216:219], a[174:175], a[126:127], v[216:219]// 00000000A9DC: D3F300D8 1F62FDAE
	v_mfma_f32_16x16x32_fp8_fp8 v[184:187], a[160:161], a[128:129], v[184:187]// 00000000A9E4: D3F300B8 1EE301A0
	v_mfma_f32_16x16x32_fp8_fp8 v[184:187], a[162:163], a[130:131], v[184:187]// 00000000A9EC: D3F300B8 1EE305A2
	v_mfma_f32_16x16x32_fp8_fp8 v[184:187], a[164:165], a[132:133], v[184:187]// 00000000A9F4: D3F300B8 1EE309A4
	v_mfma_f32_16x16x32_fp8_fp8 v[184:187], a[166:167], a[134:135], v[184:187]// 00000000A9FC: D3F300B8 1EE30DA6
	v_mfma_f32_16x16x32_fp8_fp8 v[220:223], a[168:169], a[128:129], v[220:223]// 00000000AA04: D3F300DC 1F7301A8
	v_mfma_f32_16x16x32_fp8_fp8 v[220:223], a[170:171], a[130:131], v[220:223]// 00000000AA0C: D3F300DC 1F7305AA
	v_mfma_f32_16x16x32_fp8_fp8 v[220:223], a[172:173], a[132:133], v[220:223]// 00000000AA14: D3F300DC 1F7309AC
	v_mfma_f32_16x16x32_fp8_fp8 v[220:223], a[174:175], a[134:135], v[220:223]// 00000000AA1C: D3F300DC 1F730DAE
	v_mfma_f32_16x16x32_fp8_fp8 v[188:191], a[160:161], a[136:137], v[188:191]// 00000000AA24: D3F300BC 1EF311A0
	v_mfma_f32_16x16x32_fp8_fp8 v[188:191], a[162:163], a[138:139], v[188:191]// 00000000AA2C: D3F300BC 1EF315A2
	v_mfma_f32_16x16x32_fp8_fp8 v[188:191], a[164:165], a[140:141], v[188:191]// 00000000AA34: D3F300BC 1EF319A4
	s_add_u32 s60, 0x180, s80                                  // 00000000AA3C: 803C50FF 00000180
	s_cmp_lt_u32 s60, s81                                      // 00000000AA44: BF0A513C
	s_cselect_b32 s57, s57, 0                                  // 00000000AA48: 85398039
	v_mfma_f32_16x16x32_fp8_fp8 v[188:191], a[166:167], a[142:143], v[188:191]// 00000000AA4C: D3F300BC 1EF31DA6
	s_add_u32 s60, 0x100, s80                                  // 00000000AA54: 803C50FF 00000100
	s_cmp_lt_u32 s60, s81                                      // 00000000AA5C: BF0A513C
	s_cselect_b32 s58, s58, 0                                  // 00000000AA60: 853A803A
	v_mfma_f32_16x16x32_fp8_fp8 v[224:227], a[168:169], a[136:137], v[224:227]// 00000000AA64: D3F300E0 1F8311A8
	s_add_u32 s24, s58, s24                                    // 00000000AA6C: 8018183A
	s_addc_u32 s25, 0, s25                                     // 00000000AA70: 82191980
	v_mfma_f32_16x16x32_fp8_fp8 v[224:227], a[170:171], a[138:139], v[224:227]// 00000000AA74: D3F300E0 1F8315AA
	s_add_u32 s20, s57, s20                                    // 00000000AA7C: 80141439
	s_addc_u32 s21, 0, s21                                     // 00000000AA80: 82151580
	v_mfma_f32_16x16x32_fp8_fp8 v[224:227], a[172:173], a[140:141], v[224:227]// 00000000AA84: D3F300E0 1F8319AC
	s_add_u32 s84, s83, s84                                    // 00000000AA8C: 80545453
	s_addc_u32 s85, 0, s85                                     // 00000000AA90: 82555580
	v_mfma_f32_16x16x32_fp8_fp8 v[224:227], a[174:175], a[142:143], v[224:227]// 00000000AA94: D3F300E0 1F831DAE
	s_addk_i32 s80, 0x80                                       // 00000000AA9C: B7500080
	s_cmp_lt_i32 s80, s81                                      // 00000000AAA0: BF045150
	s_cbranch_scc0 label_202E                                  // 00000000AAA4: BF840001
	s_branch label_1CC5                                        // 00000000AAA8: BF82FC97

000000000000aaac <label_202E>:
	v_mul_f32_dpp v84, v24, v84 row_newbcast:0 row_mask:0xf bank_mask:0xf// 00000000AAAC: 0AA8A8FA FF015018
	v_mul_f32_dpp v85, v24, v85 row_newbcast:1 row_mask:0xf bank_mask:0xf// 00000000AAB4: 0AAAAAFA FF015118
	v_mul_f32_dpp v86, v24, v86 row_newbcast:2 row_mask:0xf bank_mask:0xf// 00000000AABC: 0AACACFA FF015218
	v_mul_f32_dpp v87, v24, v87 row_newbcast:3 row_mask:0xf bank_mask:0xf// 00000000AAC4: 0AAEAEFA FF015318
	v_mul_f32_dpp v88, v24, v88 row_newbcast:0 row_mask:0xf bank_mask:0xf// 00000000AACC: 0AB0B0FA FF015018
	v_mul_f32_dpp v89, v24, v89 row_newbcast:1 row_mask:0xf bank_mask:0xf// 00000000AAD4: 0AB2B2FA FF015118
	v_mul_f32_dpp v90, v24, v90 row_newbcast:2 row_mask:0xf bank_mask:0xf// 00000000AADC: 0AB4B4FA FF015218
	v_mul_f32_dpp v91, v24, v91 row_newbcast:3 row_mask:0xf bank_mask:0xf// 00000000AAE4: 0AB6B6FA FF015318
	v_mul_f32_dpp v92, v24, v92 row_newbcast:0 row_mask:0xf bank_mask:0xf// 00000000AAEC: 0AB8B8FA FF015018
	v_mul_f32_dpp v93, v24, v93 row_newbcast:1 row_mask:0xf bank_mask:0xf// 00000000AAF4: 0ABABAFA FF015118
	v_mul_f32_dpp v94, v24, v94 row_newbcast:2 row_mask:0xf bank_mask:0xf// 00000000AAFC: 0ABCBCFA FF015218
	v_mul_f32_dpp v95, v24, v95 row_newbcast:3 row_mask:0xf bank_mask:0xf// 00000000AB04: 0ABEBEFA FF015318
	v_mul_f32_dpp v96, v24, v96 row_newbcast:0 row_mask:0xf bank_mask:0xf// 00000000AB0C: 0AC0C0FA FF015018
	v_mul_f32_dpp v97, v24, v97 row_newbcast:1 row_mask:0xf bank_mask:0xf// 00000000AB14: 0AC2C2FA FF015118
	v_mul_f32_dpp v98, v24, v98 row_newbcast:2 row_mask:0xf bank_mask:0xf// 00000000AB1C: 0AC4C4FA FF015218
	v_mul_f32_dpp v99, v24, v99 row_newbcast:3 row_mask:0xf bank_mask:0xf// 00000000AB24: 0AC6C6FA FF015318
	v_mul_f32_dpp v100, v24, v100 row_newbcast:0 row_mask:0xf bank_mask:0xf// 00000000AB2C: 0AC8C8FA FF015018
	v_mul_f32_dpp v101, v24, v101 row_newbcast:1 row_mask:0xf bank_mask:0xf// 00000000AB34: 0ACACAFA FF015118
	v_mul_f32_dpp v102, v24, v102 row_newbcast:2 row_mask:0xf bank_mask:0xf// 00000000AB3C: 0ACCCCFA FF015218
	v_mul_f32_dpp v103, v24, v103 row_newbcast:3 row_mask:0xf bank_mask:0xf// 00000000AB44: 0ACECEFA FF015318
	v_mul_f32_dpp v104, v24, v104 row_newbcast:0 row_mask:0xf bank_mask:0xf// 00000000AB4C: 0AD0D0FA FF015018
	v_mul_f32_dpp v105, v24, v105 row_newbcast:1 row_mask:0xf bank_mask:0xf// 00000000AB54: 0AD2D2FA FF015118
	v_mul_f32_dpp v106, v24, v106 row_newbcast:2 row_mask:0xf bank_mask:0xf// 00000000AB5C: 0AD4D4FA FF015218
	v_mul_f32_dpp v107, v24, v107 row_newbcast:3 row_mask:0xf bank_mask:0xf// 00000000AB64: 0AD6D6FA FF015318
	v_mul_f32_dpp v108, v24, v108 row_newbcast:0 row_mask:0xf bank_mask:0xf// 00000000AB6C: 0AD8D8FA FF015018
	v_mul_f32_dpp v109, v24, v109 row_newbcast:1 row_mask:0xf bank_mask:0xf// 00000000AB74: 0ADADAFA FF015118
	v_mul_f32_dpp v110, v24, v110 row_newbcast:2 row_mask:0xf bank_mask:0xf// 00000000AB7C: 0ADCDCFA FF015218
	v_mul_f32_dpp v111, v24, v111 row_newbcast:3 row_mask:0xf bank_mask:0xf// 00000000AB84: 0ADEDEFA FF015318
	v_mul_f32_dpp v112, v24, v112 row_newbcast:0 row_mask:0xf bank_mask:0xf// 00000000AB8C: 0AE0E0FA FF015018
	v_mul_f32_dpp v113, v24, v113 row_newbcast:1 row_mask:0xf bank_mask:0xf// 00000000AB94: 0AE2E2FA FF015118
	v_mul_f32_dpp v114, v24, v114 row_newbcast:2 row_mask:0xf bank_mask:0xf// 00000000AB9C: 0AE4E4FA FF015218
	v_mul_f32_dpp v115, v24, v115 row_newbcast:3 row_mask:0xf bank_mask:0xf// 00000000ABA4: 0AE6E6FA FF015318
	v_mul_f32_dpp v116, v24, v116 row_newbcast:0 row_mask:0xf bank_mask:0xf// 00000000ABAC: 0AE8E8FA FF015018
	v_mul_f32_dpp v117, v24, v117 row_newbcast:1 row_mask:0xf bank_mask:0xf// 00000000ABB4: 0AEAEAFA FF015118
	v_mul_f32_dpp v118, v24, v118 row_newbcast:2 row_mask:0xf bank_mask:0xf// 00000000ABBC: 0AECECFA FF015218
	v_mul_f32_dpp v119, v24, v119 row_newbcast:3 row_mask:0xf bank_mask:0xf// 00000000ABC4: 0AEEEEFA FF015318
	v_mul_f32_dpp v120, v24, v120 row_newbcast:4 row_mask:0xf bank_mask:0xf// 00000000ABCC: 0AF0F0FA FF015418
	v_mul_f32_dpp v121, v24, v121 row_newbcast:5 row_mask:0xf bank_mask:0xf// 00000000ABD4: 0AF2F2FA FF015518
	v_mul_f32_dpp v122, v24, v122 row_newbcast:6 row_mask:0xf bank_mask:0xf// 00000000ABDC: 0AF4F4FA FF015618
	v_mul_f32_dpp v123, v24, v123 row_newbcast:7 row_mask:0xf bank_mask:0xf// 00000000ABE4: 0AF6F6FA FF015718
	v_mul_f32_dpp v124, v24, v124 row_newbcast:4 row_mask:0xf bank_mask:0xf// 00000000ABEC: 0AF8F8FA FF015418
	v_mul_f32_dpp v125, v24, v125 row_newbcast:5 row_mask:0xf bank_mask:0xf// 00000000ABF4: 0AFAFAFA FF015518
	v_mul_f32_dpp v126, v24, v126 row_newbcast:6 row_mask:0xf bank_mask:0xf// 00000000ABFC: 0AFCFCFA FF015618
	v_mul_f32_dpp v127, v24, v127 row_newbcast:7 row_mask:0xf bank_mask:0xf// 00000000AC04: 0AFEFEFA FF015718
	v_mul_f32_dpp v128, v24, v128 row_newbcast:4 row_mask:0xf bank_mask:0xf// 00000000AC0C: 0B0100FA FF015418
	v_mul_f32_dpp v129, v24, v129 row_newbcast:5 row_mask:0xf bank_mask:0xf// 00000000AC14: 0B0302FA FF015518
	v_mul_f32_dpp v130, v24, v130 row_newbcast:6 row_mask:0xf bank_mask:0xf// 00000000AC1C: 0B0504FA FF015618
	v_mul_f32_dpp v131, v24, v131 row_newbcast:7 row_mask:0xf bank_mask:0xf// 00000000AC24: 0B0706FA FF015718
	v_mul_f32_dpp v132, v24, v132 row_newbcast:4 row_mask:0xf bank_mask:0xf// 00000000AC2C: 0B0908FA FF015418
	v_mul_f32_dpp v133, v24, v133 row_newbcast:5 row_mask:0xf bank_mask:0xf// 00000000AC34: 0B0B0AFA FF015518
	v_mul_f32_dpp v134, v24, v134 row_newbcast:6 row_mask:0xf bank_mask:0xf// 00000000AC3C: 0B0D0CFA FF015618
	v_mul_f32_dpp v135, v24, v135 row_newbcast:7 row_mask:0xf bank_mask:0xf// 00000000AC44: 0B0F0EFA FF015718
	v_mul_f32_dpp v136, v24, v136 row_newbcast:4 row_mask:0xf bank_mask:0xf// 00000000AC4C: 0B1110FA FF015418
	v_mul_f32_dpp v137, v24, v137 row_newbcast:5 row_mask:0xf bank_mask:0xf// 00000000AC54: 0B1312FA FF015518
	v_mul_f32_dpp v138, v24, v138 row_newbcast:6 row_mask:0xf bank_mask:0xf// 00000000AC5C: 0B1514FA FF015618
	v_mul_f32_dpp v139, v24, v139 row_newbcast:7 row_mask:0xf bank_mask:0xf// 00000000AC64: 0B1716FA FF015718
	v_mul_f32_dpp v140, v24, v140 row_newbcast:4 row_mask:0xf bank_mask:0xf// 00000000AC6C: 0B1918FA FF015418
	v_mul_f32_dpp v141, v24, v141 row_newbcast:5 row_mask:0xf bank_mask:0xf// 00000000AC74: 0B1B1AFA FF015518
	v_mul_f32_dpp v142, v24, v142 row_newbcast:6 row_mask:0xf bank_mask:0xf// 00000000AC7C: 0B1D1CFA FF015618
	v_mul_f32_dpp v143, v24, v143 row_newbcast:7 row_mask:0xf bank_mask:0xf// 00000000AC84: 0B1F1EFA FF015718
	v_mul_f32_dpp v144, v24, v144 row_newbcast:4 row_mask:0xf bank_mask:0xf// 00000000AC8C: 0B2120FA FF015418
	v_mul_f32_dpp v145, v24, v145 row_newbcast:5 row_mask:0xf bank_mask:0xf// 00000000AC94: 0B2322FA FF015518
	v_mul_f32_dpp v146, v24, v146 row_newbcast:6 row_mask:0xf bank_mask:0xf// 00000000AC9C: 0B2524FA FF015618
	v_mul_f32_dpp v147, v24, v147 row_newbcast:7 row_mask:0xf bank_mask:0xf// 00000000ACA4: 0B2726FA FF015718
	v_mul_f32_dpp v148, v24, v148 row_newbcast:4 row_mask:0xf bank_mask:0xf// 00000000ACAC: 0B2928FA FF015418
	v_mul_f32_dpp v149, v24, v149 row_newbcast:5 row_mask:0xf bank_mask:0xf// 00000000ACB4: 0B2B2AFA FF015518
	v_mul_f32_dpp v150, v24, v150 row_newbcast:6 row_mask:0xf bank_mask:0xf// 00000000ACBC: 0B2D2CFA FF015618
	v_mul_f32_dpp v151, v24, v151 row_newbcast:7 row_mask:0xf bank_mask:0xf// 00000000ACC4: 0B2F2EFA FF015718
	v_mul_f32_dpp v152, v24, v152 row_newbcast:4 row_mask:0xf bank_mask:0xf// 00000000ACCC: 0B3130FA FF015418
	v_mul_f32_dpp v153, v24, v153 row_newbcast:5 row_mask:0xf bank_mask:0xf// 00000000ACD4: 0B3332FA FF015518
	v_mul_f32_dpp v154, v24, v154 row_newbcast:6 row_mask:0xf bank_mask:0xf// 00000000ACDC: 0B3534FA FF015618
	v_mul_f32_dpp v155, v24, v155 row_newbcast:7 row_mask:0xf bank_mask:0xf// 00000000ACE4: 0B3736FA FF015718
	v_mul_f32_dpp v156, v26, v156 row_newbcast:0 row_mask:0xf bank_mask:0xf// 00000000ACEC: 0B3938FA FF01501A
	v_mul_f32_dpp v157, v26, v157 row_newbcast:1 row_mask:0xf bank_mask:0xf// 00000000ACF4: 0B3B3AFA FF01511A
	v_mul_f32_dpp v158, v26, v158 row_newbcast:2 row_mask:0xf bank_mask:0xf// 00000000ACFC: 0B3D3CFA FF01521A
	v_mul_f32_dpp v159, v26, v159 row_newbcast:3 row_mask:0xf bank_mask:0xf// 00000000AD04: 0B3F3EFA FF01531A
	v_mul_f32_dpp v160, v26, v160 row_newbcast:0 row_mask:0xf bank_mask:0xf// 00000000AD0C: 0B4140FA FF01501A
	v_mul_f32_dpp v161, v26, v161 row_newbcast:1 row_mask:0xf bank_mask:0xf// 00000000AD14: 0B4342FA FF01511A
	v_mul_f32_dpp v162, v26, v162 row_newbcast:2 row_mask:0xf bank_mask:0xf// 00000000AD1C: 0B4544FA FF01521A
	v_mul_f32_dpp v163, v26, v163 row_newbcast:3 row_mask:0xf bank_mask:0xf// 00000000AD24: 0B4746FA FF01531A
	v_mul_f32_dpp v164, v26, v164 row_newbcast:0 row_mask:0xf bank_mask:0xf// 00000000AD2C: 0B4948FA FF01501A
	v_mul_f32_dpp v165, v26, v165 row_newbcast:1 row_mask:0xf bank_mask:0xf// 00000000AD34: 0B4B4AFA FF01511A
	v_mul_f32_dpp v166, v26, v166 row_newbcast:2 row_mask:0xf bank_mask:0xf// 00000000AD3C: 0B4D4CFA FF01521A
	v_mul_f32_dpp v167, v26, v167 row_newbcast:3 row_mask:0xf bank_mask:0xf// 00000000AD44: 0B4F4EFA FF01531A
	v_mul_f32_dpp v168, v26, v168 row_newbcast:0 row_mask:0xf bank_mask:0xf// 00000000AD4C: 0B5150FA FF01501A
	v_mul_f32_dpp v169, v26, v169 row_newbcast:1 row_mask:0xf bank_mask:0xf// 00000000AD54: 0B5352FA FF01511A
	v_mul_f32_dpp v170, v26, v170 row_newbcast:2 row_mask:0xf bank_mask:0xf// 00000000AD5C: 0B5554FA FF01521A
	v_mul_f32_dpp v171, v26, v171 row_newbcast:3 row_mask:0xf bank_mask:0xf// 00000000AD64: 0B5756FA FF01531A
	v_mul_f32_dpp v172, v26, v172 row_newbcast:0 row_mask:0xf bank_mask:0xf// 00000000AD6C: 0B5958FA FF01501A
	v_mul_f32_dpp v173, v26, v173 row_newbcast:1 row_mask:0xf bank_mask:0xf// 00000000AD74: 0B5B5AFA FF01511A
	v_mul_f32_dpp v174, v26, v174 row_newbcast:2 row_mask:0xf bank_mask:0xf// 00000000AD7C: 0B5D5CFA FF01521A
	v_mul_f32_dpp v175, v26, v175 row_newbcast:3 row_mask:0xf bank_mask:0xf// 00000000AD84: 0B5F5EFA FF01531A
	v_mul_f32_dpp v176, v26, v176 row_newbcast:0 row_mask:0xf bank_mask:0xf// 00000000AD8C: 0B6160FA FF01501A
	v_mul_f32_dpp v177, v26, v177 row_newbcast:1 row_mask:0xf bank_mask:0xf// 00000000AD94: 0B6362FA FF01511A
	v_mul_f32_dpp v178, v26, v178 row_newbcast:2 row_mask:0xf bank_mask:0xf// 00000000AD9C: 0B6564FA FF01521A
	v_mul_f32_dpp v179, v26, v179 row_newbcast:3 row_mask:0xf bank_mask:0xf// 00000000ADA4: 0B6766FA FF01531A
	v_mul_f32_dpp v180, v26, v180 row_newbcast:0 row_mask:0xf bank_mask:0xf// 00000000ADAC: 0B6968FA FF01501A
	v_mul_f32_dpp v181, v26, v181 row_newbcast:1 row_mask:0xf bank_mask:0xf// 00000000ADB4: 0B6B6AFA FF01511A
	v_mul_f32_dpp v182, v26, v182 row_newbcast:2 row_mask:0xf bank_mask:0xf// 00000000ADBC: 0B6D6CFA FF01521A
	v_mul_f32_dpp v183, v26, v183 row_newbcast:3 row_mask:0xf bank_mask:0xf// 00000000ADC4: 0B6F6EFA FF01531A
	v_mul_f32_dpp v184, v26, v184 row_newbcast:0 row_mask:0xf bank_mask:0xf// 00000000ADCC: 0B7170FA FF01501A
	v_mul_f32_dpp v185, v26, v185 row_newbcast:1 row_mask:0xf bank_mask:0xf// 00000000ADD4: 0B7372FA FF01511A
	v_mul_f32_dpp v186, v26, v186 row_newbcast:2 row_mask:0xf bank_mask:0xf// 00000000ADDC: 0B7574FA FF01521A
	v_mul_f32_dpp v187, v26, v187 row_newbcast:3 row_mask:0xf bank_mask:0xf// 00000000ADE4: 0B7776FA FF01531A
	v_mul_f32_dpp v188, v26, v188 row_newbcast:0 row_mask:0xf bank_mask:0xf// 00000000ADEC: 0B7978FA FF01501A
	v_mul_f32_dpp v189, v26, v189 row_newbcast:1 row_mask:0xf bank_mask:0xf// 00000000ADF4: 0B7B7AFA FF01511A
	v_mul_f32_dpp v190, v26, v190 row_newbcast:2 row_mask:0xf bank_mask:0xf// 00000000ADFC: 0B7D7CFA FF01521A
	v_mul_f32_dpp v191, v26, v191 row_newbcast:3 row_mask:0xf bank_mask:0xf// 00000000AE04: 0B7F7EFA FF01531A
	v_mul_f32_dpp v192, v26, v192 row_newbcast:4 row_mask:0xf bank_mask:0xf// 00000000AE0C: 0B8180FA FF01541A
	v_mul_f32_dpp v193, v26, v193 row_newbcast:5 row_mask:0xf bank_mask:0xf// 00000000AE14: 0B8382FA FF01551A
	v_mul_f32_dpp v194, v26, v194 row_newbcast:6 row_mask:0xf bank_mask:0xf// 00000000AE1C: 0B8584FA FF01561A
	v_mul_f32_dpp v195, v26, v195 row_newbcast:7 row_mask:0xf bank_mask:0xf// 00000000AE24: 0B8786FA FF01571A
	v_mul_f32_dpp v196, v26, v196 row_newbcast:4 row_mask:0xf bank_mask:0xf// 00000000AE2C: 0B8988FA FF01541A
	v_mul_f32_dpp v197, v26, v197 row_newbcast:5 row_mask:0xf bank_mask:0xf// 00000000AE34: 0B8B8AFA FF01551A
	v_mul_f32_dpp v198, v26, v198 row_newbcast:6 row_mask:0xf bank_mask:0xf// 00000000AE3C: 0B8D8CFA FF01561A
	v_mul_f32_dpp v199, v26, v199 row_newbcast:7 row_mask:0xf bank_mask:0xf// 00000000AE44: 0B8F8EFA FF01571A
	v_mul_f32_dpp v200, v26, v200 row_newbcast:4 row_mask:0xf bank_mask:0xf// 00000000AE4C: 0B9190FA FF01541A
	v_mul_f32_dpp v201, v26, v201 row_newbcast:5 row_mask:0xf bank_mask:0xf// 00000000AE54: 0B9392FA FF01551A
	v_mul_f32_dpp v202, v26, v202 row_newbcast:6 row_mask:0xf bank_mask:0xf// 00000000AE5C: 0B9594FA FF01561A
	v_mul_f32_dpp v203, v26, v203 row_newbcast:7 row_mask:0xf bank_mask:0xf// 00000000AE64: 0B9796FA FF01571A
	v_mul_f32_dpp v204, v26, v204 row_newbcast:4 row_mask:0xf bank_mask:0xf// 00000000AE6C: 0B9998FA FF01541A
	v_mul_f32_dpp v205, v26, v205 row_newbcast:5 row_mask:0xf bank_mask:0xf// 00000000AE74: 0B9B9AFA FF01551A
	v_mul_f32_dpp v206, v26, v206 row_newbcast:6 row_mask:0xf bank_mask:0xf// 00000000AE7C: 0B9D9CFA FF01561A
	v_mul_f32_dpp v207, v26, v207 row_newbcast:7 row_mask:0xf bank_mask:0xf// 00000000AE84: 0B9F9EFA FF01571A
	v_mul_f32_dpp v208, v26, v208 row_newbcast:4 row_mask:0xf bank_mask:0xf// 00000000AE8C: 0BA1A0FA FF01541A
	v_mul_f32_dpp v209, v26, v209 row_newbcast:5 row_mask:0xf bank_mask:0xf// 00000000AE94: 0BA3A2FA FF01551A
	v_mul_f32_dpp v210, v26, v210 row_newbcast:6 row_mask:0xf bank_mask:0xf// 00000000AE9C: 0BA5A4FA FF01561A
	v_mul_f32_dpp v211, v26, v211 row_newbcast:7 row_mask:0xf bank_mask:0xf// 00000000AEA4: 0BA7A6FA FF01571A
	v_mul_f32_dpp v212, v26, v212 row_newbcast:4 row_mask:0xf bank_mask:0xf// 00000000AEAC: 0BA9A8FA FF01541A
	v_mul_f32_dpp v213, v26, v213 row_newbcast:5 row_mask:0xf bank_mask:0xf// 00000000AEB4: 0BABAAFA FF01551A
	v_mul_f32_dpp v214, v26, v214 row_newbcast:6 row_mask:0xf bank_mask:0xf// 00000000AEBC: 0BADACFA FF01561A
	v_mul_f32_dpp v215, v26, v215 row_newbcast:7 row_mask:0xf bank_mask:0xf// 00000000AEC4: 0BAFAEFA FF01571A
	v_mul_f32_dpp v216, v26, v216 row_newbcast:4 row_mask:0xf bank_mask:0xf// 00000000AECC: 0BB1B0FA FF01541A
	v_mul_f32_dpp v217, v26, v217 row_newbcast:5 row_mask:0xf bank_mask:0xf// 00000000AED4: 0BB3B2FA FF01551A
	v_mul_f32_dpp v218, v26, v218 row_newbcast:6 row_mask:0xf bank_mask:0xf// 00000000AEDC: 0BB5B4FA FF01561A
	v_mul_f32_dpp v219, v26, v219 row_newbcast:7 row_mask:0xf bank_mask:0xf// 00000000AEE4: 0BB7B6FA FF01571A
	v_mul_f32_dpp v220, v26, v220 row_newbcast:4 row_mask:0xf bank_mask:0xf// 00000000AEEC: 0BB9B8FA FF01541A
	v_mul_f32_dpp v221, v26, v221 row_newbcast:5 row_mask:0xf bank_mask:0xf// 00000000AEF4: 0BBBBAFA FF01551A
	v_mul_f32_dpp v222, v26, v222 row_newbcast:6 row_mask:0xf bank_mask:0xf// 00000000AEFC: 0BBDBCFA FF01561A
	v_mul_f32_dpp v223, v26, v223 row_newbcast:7 row_mask:0xf bank_mask:0xf// 00000000AF04: 0BBFBEFA FF01571A
	v_mul_f32_dpp v224, v26, v224 row_newbcast:4 row_mask:0xf bank_mask:0xf// 00000000AF0C: 0BC1C0FA FF01541A
	v_mul_f32_dpp v225, v26, v225 row_newbcast:5 row_mask:0xf bank_mask:0xf// 00000000AF14: 0BC3C2FA FF01551A
	v_mul_f32_dpp v226, v26, v226 row_newbcast:6 row_mask:0xf bank_mask:0xf// 00000000AF1C: 0BC5C4FA FF01561A
	v_mul_f32_dpp v227, v26, v227 row_newbcast:7 row_mask:0xf bank_mask:0xf// 00000000AF24: 0BC7C6FA FF01571A
	v_mul_f32_e32 v37, v37, v228                               // 00000000AF2C: 0A4BC925
	v_mov_b32_e32 v4, v37                                      // 00000000AF30: 7E080325
	v_mov_b32_e32 v5, v4                                       // 00000000AF34: 7E0A0304
	v_pk_mul_f32 v[84:85], v[4:5], v[84:85]                    // 00000000AF38: D3B14054 1802A904
	v_pk_mul_f32 v[156:157], v[4:5], v[156:157]                // 00000000AF40: D3B1409C 18033904
	v_pk_mul_f32 v[86:87], v[4:5], v[86:87]                    // 00000000AF48: D3B14056 1802AD04
	v_pk_mul_f32 v[158:159], v[4:5], v[158:159]                // 00000000AF50: D3B1409E 18033D04
	v_pk_mul_f32 v[120:121], v[4:5], v[120:121]                // 00000000AF58: D3B14078 1802F104
	v_pk_mul_f32 v[192:193], v[4:5], v[192:193]                // 00000000AF60: D3B140C0 18038104
	v_pk_mul_f32 v[122:123], v[4:5], v[122:123]                // 00000000AF68: D3B1407A 1802F504
	v_pk_mul_f32 v[194:195], v[4:5], v[194:195]                // 00000000AF70: D3B140C2 18038504
	v_mul_f32_e32 v38, v38, v229                               // 00000000AF78: 0A4DCB26
	v_mov_b32_e32 v4, v38                                      // 00000000AF7C: 7E080326
	v_mov_b32_e32 v5, v4                                       // 00000000AF80: 7E0A0304
	v_pk_mul_f32 v[88:89], v[4:5], v[88:89]                    // 00000000AF84: D3B14058 1802B104
	v_pk_mul_f32 v[160:161], v[4:5], v[160:161]                // 00000000AF8C: D3B140A0 18034104
	v_pk_mul_f32 v[90:91], v[4:5], v[90:91]                    // 00000000AF94: D3B1405A 1802B504
	v_pk_mul_f32 v[162:163], v[4:5], v[162:163]                // 00000000AF9C: D3B140A2 18034504
	v_pk_mul_f32 v[124:125], v[4:5], v[124:125]                // 00000000AFA4: D3B1407C 1802F904
	v_pk_mul_f32 v[196:197], v[4:5], v[196:197]                // 00000000AFAC: D3B140C4 18038904
	v_pk_mul_f32 v[126:127], v[4:5], v[126:127]                // 00000000AFB4: D3B1407E 1802FD04
	v_pk_mul_f32 v[198:199], v[4:5], v[198:199]                // 00000000AFBC: D3B140C6 18038D04
	v_mul_f32_e32 v39, v39, v230                               // 00000000AFC4: 0A4FCD27
	v_mov_b32_e32 v4, v39                                      // 00000000AFC8: 7E080327
	v_mov_b32_e32 v5, v4                                       // 00000000AFCC: 7E0A0304
	v_pk_mul_f32 v[92:93], v[4:5], v[92:93]                    // 00000000AFD0: D3B1405C 1802B904
	v_pk_mul_f32 v[164:165], v[4:5], v[164:165]                // 00000000AFD8: D3B140A4 18034904
	v_pk_mul_f32 v[94:95], v[4:5], v[94:95]                    // 00000000AFE0: D3B1405E 1802BD04
	v_pk_mul_f32 v[166:167], v[4:5], v[166:167]                // 00000000AFE8: D3B140A6 18034D04
	v_pk_mul_f32 v[128:129], v[4:5], v[128:129]                // 00000000AFF0: D3B14080 18030104
	v_pk_mul_f32 v[200:201], v[4:5], v[200:201]                // 00000000AFF8: D3B140C8 18039104
	v_pk_mul_f32 v[130:131], v[4:5], v[130:131]                // 00000000B000: D3B14082 18030504
	v_pk_mul_f32 v[202:203], v[4:5], v[202:203]                // 00000000B008: D3B140CA 18039504
	v_mul_f32_e32 v40, v40, v231                               // 00000000B010: 0A51CF28
	v_mov_b32_e32 v4, v40                                      // 00000000B014: 7E080328
	v_mov_b32_e32 v5, v4                                       // 00000000B018: 7E0A0304
	v_pk_mul_f32 v[96:97], v[4:5], v[96:97]                    // 00000000B01C: D3B14060 1802C104
	v_pk_mul_f32 v[168:169], v[4:5], v[168:169]                // 00000000B024: D3B140A8 18035104
	v_pk_mul_f32 v[98:99], v[4:5], v[98:99]                    // 00000000B02C: D3B14062 1802C504
	v_pk_mul_f32 v[170:171], v[4:5], v[170:171]                // 00000000B034: D3B140AA 18035504
	v_pk_mul_f32 v[132:133], v[4:5], v[132:133]                // 00000000B03C: D3B14084 18030904
	v_pk_mul_f32 v[204:205], v[4:5], v[204:205]                // 00000000B044: D3B140CC 18039904
	v_pk_mul_f32 v[134:135], v[4:5], v[134:135]                // 00000000B04C: D3B14086 18030D04
	v_pk_mul_f32 v[206:207], v[4:5], v[206:207]                // 00000000B054: D3B140CE 18039D04
	v_mul_f32_e32 v41, v41, v232                               // 00000000B05C: 0A53D129
	v_mov_b32_e32 v4, v41                                      // 00000000B060: 7E080329
	v_mov_b32_e32 v5, v4                                       // 00000000B064: 7E0A0304
	v_pk_mul_f32 v[100:101], v[4:5], v[100:101]                // 00000000B068: D3B14064 1802C904
	v_pk_mul_f32 v[172:173], v[4:5], v[172:173]                // 00000000B070: D3B140AC 18035904
	v_pk_mul_f32 v[102:103], v[4:5], v[102:103]                // 00000000B078: D3B14066 1802CD04
	v_pk_mul_f32 v[174:175], v[4:5], v[174:175]                // 00000000B080: D3B140AE 18035D04
	v_pk_mul_f32 v[136:137], v[4:5], v[136:137]                // 00000000B088: D3B14088 18031104
	v_pk_mul_f32 v[208:209], v[4:5], v[208:209]                // 00000000B090: D3B140D0 1803A104
	v_pk_mul_f32 v[138:139], v[4:5], v[138:139]                // 00000000B098: D3B1408A 18031504
	v_pk_mul_f32 v[210:211], v[4:5], v[210:211]                // 00000000B0A0: D3B140D2 1803A504
	v_mul_f32_e32 v42, v42, v233                               // 00000000B0A8: 0A55D32A
	v_mov_b32_e32 v4, v42                                      // 00000000B0AC: 7E08032A
	v_mov_b32_e32 v5, v4                                       // 00000000B0B0: 7E0A0304
	v_pk_mul_f32 v[104:105], v[4:5], v[104:105]                // 00000000B0B4: D3B14068 1802D104
	v_pk_mul_f32 v[176:177], v[4:5], v[176:177]                // 00000000B0BC: D3B140B0 18036104
	v_pk_mul_f32 v[106:107], v[4:5], v[106:107]                // 00000000B0C4: D3B1406A 1802D504
	v_pk_mul_f32 v[178:179], v[4:5], v[178:179]                // 00000000B0CC: D3B140B2 18036504
	v_pk_mul_f32 v[140:141], v[4:5], v[140:141]                // 00000000B0D4: D3B1408C 18031904
	v_pk_mul_f32 v[212:213], v[4:5], v[212:213]                // 00000000B0DC: D3B140D4 1803A904
	v_pk_mul_f32 v[142:143], v[4:5], v[142:143]                // 00000000B0E4: D3B1408E 18031D04
	v_pk_mul_f32 v[214:215], v[4:5], v[214:215]                // 00000000B0EC: D3B140D6 1803AD04
	v_mul_f32_e32 v43, v43, v234                               // 00000000B0F4: 0A57D52B
	v_mov_b32_e32 v4, v43                                      // 00000000B0F8: 7E08032B
	v_mov_b32_e32 v5, v4                                       // 00000000B0FC: 7E0A0304
	v_pk_mul_f32 v[108:109], v[4:5], v[108:109]                // 00000000B100: D3B1406C 1802D904
	v_pk_mul_f32 v[180:181], v[4:5], v[180:181]                // 00000000B108: D3B140B4 18036904
	v_pk_mul_f32 v[110:111], v[4:5], v[110:111]                // 00000000B110: D3B1406E 1802DD04
	v_pk_mul_f32 v[182:183], v[4:5], v[182:183]                // 00000000B118: D3B140B6 18036D04
	v_pk_mul_f32 v[144:145], v[4:5], v[144:145]                // 00000000B120: D3B14090 18032104
	v_pk_mul_f32 v[216:217], v[4:5], v[216:217]                // 00000000B128: D3B140D8 1803B104
	v_pk_mul_f32 v[146:147], v[4:5], v[146:147]                // 00000000B130: D3B14092 18032504
	v_pk_mul_f32 v[218:219], v[4:5], v[218:219]                // 00000000B138: D3B140DA 1803B504
	v_mul_f32_e32 v44, v44, v235                               // 00000000B140: 0A59D72C
	v_mov_b32_e32 v4, v44                                      // 00000000B144: 7E08032C
	v_mov_b32_e32 v5, v4                                       // 00000000B148: 7E0A0304
	v_pk_mul_f32 v[112:113], v[4:5], v[112:113]                // 00000000B14C: D3B14070 1802E104
	v_pk_mul_f32 v[184:185], v[4:5], v[184:185]                // 00000000B154: D3B140B8 18037104
	v_pk_mul_f32 v[114:115], v[4:5], v[114:115]                // 00000000B15C: D3B14072 1802E504
	v_pk_mul_f32 v[186:187], v[4:5], v[186:187]                // 00000000B164: D3B140BA 18037504
	v_pk_mul_f32 v[148:149], v[4:5], v[148:149]                // 00000000B16C: D3B14094 18032904
	v_pk_mul_f32 v[220:221], v[4:5], v[220:221]                // 00000000B174: D3B140DC 1803B904
	v_pk_mul_f32 v[150:151], v[4:5], v[150:151]                // 00000000B17C: D3B14096 18032D04
	v_pk_mul_f32 v[222:223], v[4:5], v[222:223]                // 00000000B184: D3B140DE 1803BD04
	v_mul_f32_e32 v45, v45, v236                               // 00000000B18C: 0A5BD92D
	v_mov_b32_e32 v4, v45                                      // 00000000B190: 7E08032D
	v_mov_b32_e32 v5, v4                                       // 00000000B194: 7E0A0304
	v_pk_mul_f32 v[116:117], v[4:5], v[116:117]                // 00000000B198: D3B14074 1802E904
	v_pk_mul_f32 v[188:189], v[4:5], v[188:189]                // 00000000B1A0: D3B140BC 18037904
	v_pk_mul_f32 v[118:119], v[4:5], v[118:119]                // 00000000B1A8: D3B14076 1802ED04
	v_pk_mul_f32 v[190:191], v[4:5], v[190:191]                // 00000000B1B0: D3B140BE 18037D04
	v_pk_mul_f32 v[152:153], v[4:5], v[152:153]                // 00000000B1B8: D3B14098 18033104
	v_pk_mul_f32 v[224:225], v[4:5], v[224:225]                // 00000000B1C0: D3B140E0 1803C104
	v_pk_mul_f32 v[154:155], v[4:5], v[154:155]                // 00000000B1C8: D3B1409A 18033504
	v_pk_mul_f32 v[226:227], v[4:5], v[226:227]                // 00000000B1D0: D3B140E2 1803C504
	s_cmp_eq_u32 s88, 0                                        // 00000000B1D8: BF068058
	s_cbranch_scc0 label_2C84                                  // 00000000B1DC: BF840A89
	s_cmp_eq_u32 s89, 0                                        // 00000000B1E0: BF068059
	s_cbranch_scc1 label_24D2                                  // 00000000B1E4: BF8502D5
	v_mov_b32_e32 v8, v1                                       // 00000000B1E8: 7E100301
	v_mov_b32_e32 v9, v1                                       // 00000000B1EC: 7E120301
	s_mov_b32 s60, s6                                          // 00000000B1F0: BEBC0006
	s_mov_b32 s61, s6                                          // 00000000B1F4: BEBD0006
	v_pk_mul_f32 v[4:5], v[84:85], v[84:85]                    // 00000000B1F8: D3B14004 1802A954
	v_pk_mul_f32 v[6:7], v[86:87], v[86:87]                    // 00000000B200: D3B14006 1802AD56
	v_pk_fma_f32 v[4:5], v[4:5], s[78:79], v[8:9]              // 00000000B208: D3B04004 1C209D04
	v_pk_fma_f32 v[6:7], v[6:7], s[78:79], v[8:9]              // 00000000B210: D3B04006 1C209D06
	v_pk_mul_f32 v[4:5], v[4:5], v[84:85]                      // 00000000B218: D3B14004 1802A904
	v_pk_mul_f32 v[6:7], v[6:7], v[86:87]                      // 00000000B220: D3B14006 1802AD06
	v_pk_mul_f32 v[4:5], v[4:5], s[60:61]                      // 00000000B228: D3B14004 18007904
	v_pk_mul_f32 v[6:7], v[6:7], s[60:61]                      // 00000000B230: D3B14006 18007906
	v_exp_f32_e32 v4, v4                                       // 00000000B238: 7E084104
	v_exp_f32_e32 v5, v5                                       // 00000000B23C: 7E0A4105
	v_exp_f32_e32 v6, v6                                       // 00000000B240: 7E0C4106
	v_exp_f32_e32 v7, v7                                       // 00000000B244: 7E0E4107
	v_add_f32_e64 v4, v4, 1.0                                  // 00000000B248: D1010004 0001E504
	v_add_f32_e64 v5, v5, 1.0                                  // 00000000B250: D1010005 0001E505
	v_add_f32_e64 v6, v6, 1.0                                  // 00000000B258: D1010006 0001E506
	v_add_f32_e64 v7, v7, 1.0                                  // 00000000B260: D1010007 0001E507
	v_rcp_f32_e32 v4, v4                                       // 00000000B268: 7E084504
	v_rcp_f32_e32 v5, v5                                       // 00000000B26C: 7E0A4505
	v_rcp_f32_e32 v6, v6                                       // 00000000B270: 7E0C4506
	v_rcp_f32_e32 v7, v7                                       // 00000000B274: 7E0E4507
	v_mul_f32_e32 v84, v84, v4                                 // 00000000B278: 0AA80954
	v_mul_f32_e32 v85, v85, v5                                 // 00000000B27C: 0AAA0B55
	v_mul_f32_e32 v86, v86, v6                                 // 00000000B280: 0AAC0D56
	v_mul_f32_e32 v87, v87, v7                                 // 00000000B284: 0AAE0F57
	v_mul_f32_e32 v84, v84, v156                               // 00000000B288: 0AA93954
	v_mul_f32_e32 v85, v85, v157                               // 00000000B28C: 0AAB3B55
	v_mul_f32_e32 v86, v86, v158                               // 00000000B290: 0AAD3D56
	v_mul_f32_e32 v87, v87, v159                               // 00000000B294: 0AAF3F57
	v_pk_mul_f32 v[4:5], v[88:89], v[88:89]                    // 00000000B298: D3B14004 1802B158
	v_pk_mul_f32 v[6:7], v[90:91], v[90:91]                    // 00000000B2A0: D3B14006 1802B55A
	v_pk_fma_f32 v[4:5], v[4:5], s[78:79], v[8:9]              // 00000000B2A8: D3B04004 1C209D04
	v_pk_fma_f32 v[6:7], v[6:7], s[78:79], v[8:9]              // 00000000B2B0: D3B04006 1C209D06
	v_pk_mul_f32 v[4:5], v[4:5], v[88:89]                      // 00000000B2B8: D3B14004 1802B104
	v_pk_mul_f32 v[6:7], v[6:7], v[90:91]                      // 00000000B2C0: D3B14006 1802B506
	v_pk_mul_f32 v[4:5], v[4:5], s[60:61]                      // 00000000B2C8: D3B14004 18007904
	v_pk_mul_f32 v[6:7], v[6:7], s[60:61]                      // 00000000B2D0: D3B14006 18007906
	v_exp_f32_e32 v4, v4                                       // 00000000B2D8: 7E084104
	v_exp_f32_e32 v5, v5                                       // 00000000B2DC: 7E0A4105
	v_exp_f32_e32 v6, v6                                       // 00000000B2E0: 7E0C4106
	v_exp_f32_e32 v7, v7                                       // 00000000B2E4: 7E0E4107
	v_add_f32_e64 v4, v4, 1.0                                  // 00000000B2E8: D1010004 0001E504
	v_add_f32_e64 v5, v5, 1.0                                  // 00000000B2F0: D1010005 0001E505
	v_add_f32_e64 v6, v6, 1.0                                  // 00000000B2F8: D1010006 0001E506
	v_add_f32_e64 v7, v7, 1.0                                  // 00000000B300: D1010007 0001E507
	v_rcp_f32_e32 v4, v4                                       // 00000000B308: 7E084504
	v_rcp_f32_e32 v5, v5                                       // 00000000B30C: 7E0A4505
	v_rcp_f32_e32 v6, v6                                       // 00000000B310: 7E0C4506
	v_rcp_f32_e32 v7, v7                                       // 00000000B314: 7E0E4507
	v_mul_f32_e32 v88, v88, v4                                 // 00000000B318: 0AB00958
	v_mul_f32_e32 v89, v89, v5                                 // 00000000B31C: 0AB20B59
	v_mul_f32_e32 v90, v90, v6                                 // 00000000B320: 0AB40D5A
	v_mul_f32_e32 v91, v91, v7                                 // 00000000B324: 0AB60F5B
	v_mul_f32_e32 v88, v88, v160                               // 00000000B328: 0AB14158
	v_mul_f32_e32 v89, v89, v161                               // 00000000B32C: 0AB34359
	v_mul_f32_e32 v90, v90, v162                               // 00000000B330: 0AB5455A
	v_mul_f32_e32 v91, v91, v163                               // 00000000B334: 0AB7475B
	v_pk_mul_f32 v[4:5], v[92:93], v[92:93]                    // 00000000B338: D3B14004 1802B95C
	v_pk_mul_f32 v[6:7], v[94:95], v[94:95]                    // 00000000B340: D3B14006 1802BD5E
	v_pk_fma_f32 v[4:5], v[4:5], s[78:79], v[8:9]              // 00000000B348: D3B04004 1C209D04
	v_pk_fma_f32 v[6:7], v[6:7], s[78:79], v[8:9]              // 00000000B350: D3B04006 1C209D06
	v_pk_mul_f32 v[4:5], v[4:5], v[92:93]                      // 00000000B358: D3B14004 1802B904
	v_pk_mul_f32 v[6:7], v[6:7], v[94:95]                      // 00000000B360: D3B14006 1802BD06
	v_pk_mul_f32 v[4:5], v[4:5], s[60:61]                      // 00000000B368: D3B14004 18007904
	v_pk_mul_f32 v[6:7], v[6:7], s[60:61]                      // 00000000B370: D3B14006 18007906
	v_exp_f32_e32 v4, v4                                       // 00000000B378: 7E084104
	v_exp_f32_e32 v5, v5                                       // 00000000B37C: 7E0A4105
	v_exp_f32_e32 v6, v6                                       // 00000000B380: 7E0C4106
	v_exp_f32_e32 v7, v7                                       // 00000000B384: 7E0E4107
	v_add_f32_e64 v4, v4, 1.0                                  // 00000000B388: D1010004 0001E504
	v_add_f32_e64 v5, v5, 1.0                                  // 00000000B390: D1010005 0001E505
	v_add_f32_e64 v6, v6, 1.0                                  // 00000000B398: D1010006 0001E506
	v_add_f32_e64 v7, v7, 1.0                                  // 00000000B3A0: D1010007 0001E507
	v_rcp_f32_e32 v4, v4                                       // 00000000B3A8: 7E084504
	v_rcp_f32_e32 v5, v5                                       // 00000000B3AC: 7E0A4505
	v_rcp_f32_e32 v6, v6                                       // 00000000B3B0: 7E0C4506
	v_rcp_f32_e32 v7, v7                                       // 00000000B3B4: 7E0E4507
	v_mul_f32_e32 v92, v92, v4                                 // 00000000B3B8: 0AB8095C
	v_mul_f32_e32 v93, v93, v5                                 // 00000000B3BC: 0ABA0B5D
	v_mul_f32_e32 v94, v94, v6                                 // 00000000B3C0: 0ABC0D5E
	v_mul_f32_e32 v95, v95, v7                                 // 00000000B3C4: 0ABE0F5F
	v_mul_f32_e32 v92, v92, v164                               // 00000000B3C8: 0AB9495C
	v_mul_f32_e32 v93, v93, v165                               // 00000000B3CC: 0ABB4B5D
	v_mul_f32_e32 v94, v94, v166                               // 00000000B3D0: 0ABD4D5E
	v_mul_f32_e32 v95, v95, v167                               // 00000000B3D4: 0ABF4F5F
	v_pk_mul_f32 v[4:5], v[96:97], v[96:97]                    // 00000000B3D8: D3B14004 1802C160
	v_pk_mul_f32 v[6:7], v[98:99], v[98:99]                    // 00000000B3E0: D3B14006 1802C562
	v_pk_fma_f32 v[4:5], v[4:5], s[78:79], v[8:9]              // 00000000B3E8: D3B04004 1C209D04
	v_pk_fma_f32 v[6:7], v[6:7], s[78:79], v[8:9]              // 00000000B3F0: D3B04006 1C209D06
	v_pk_mul_f32 v[4:5], v[4:5], v[96:97]                      // 00000000B3F8: D3B14004 1802C104
	v_pk_mul_f32 v[6:7], v[6:7], v[98:99]                      // 00000000B400: D3B14006 1802C506
	v_pk_mul_f32 v[4:5], v[4:5], s[60:61]                      // 00000000B408: D3B14004 18007904
	v_pk_mul_f32 v[6:7], v[6:7], s[60:61]                      // 00000000B410: D3B14006 18007906
	v_exp_f32_e32 v4, v4                                       // 00000000B418: 7E084104
	v_exp_f32_e32 v5, v5                                       // 00000000B41C: 7E0A4105
	v_exp_f32_e32 v6, v6                                       // 00000000B420: 7E0C4106
	v_exp_f32_e32 v7, v7                                       // 00000000B424: 7E0E4107
	v_add_f32_e64 v4, v4, 1.0                                  // 00000000B428: D1010004 0001E504
	v_add_f32_e64 v5, v5, 1.0                                  // 00000000B430: D1010005 0001E505
	v_add_f32_e64 v6, v6, 1.0                                  // 00000000B438: D1010006 0001E506
	v_add_f32_e64 v7, v7, 1.0                                  // 00000000B440: D1010007 0001E507
	v_rcp_f32_e32 v4, v4                                       // 00000000B448: 7E084504
	v_rcp_f32_e32 v5, v5                                       // 00000000B44C: 7E0A4505
	v_rcp_f32_e32 v6, v6                                       // 00000000B450: 7E0C4506
	v_rcp_f32_e32 v7, v7                                       // 00000000B454: 7E0E4507
	v_mul_f32_e32 v96, v96, v4                                 // 00000000B458: 0AC00960
	v_mul_f32_e32 v97, v97, v5                                 // 00000000B45C: 0AC20B61
	v_mul_f32_e32 v98, v98, v6                                 // 00000000B460: 0AC40D62
	v_mul_f32_e32 v99, v99, v7                                 // 00000000B464: 0AC60F63
	v_mul_f32_e32 v96, v96, v168                               // 00000000B468: 0AC15160
	v_mul_f32_e32 v97, v97, v169                               // 00000000B46C: 0AC35361
	v_mul_f32_e32 v98, v98, v170                               // 00000000B470: 0AC55562
	v_mul_f32_e32 v99, v99, v171                               // 00000000B474: 0AC75763
	v_pk_mul_f32 v[4:5], v[100:101], v[100:101]                // 00000000B478: D3B14004 1802C964
	v_pk_mul_f32 v[6:7], v[102:103], v[102:103]                // 00000000B480: D3B14006 1802CD66
	v_pk_fma_f32 v[4:5], v[4:5], s[78:79], v[8:9]              // 00000000B488: D3B04004 1C209D04
	v_pk_fma_f32 v[6:7], v[6:7], s[78:79], v[8:9]              // 00000000B490: D3B04006 1C209D06
	v_pk_mul_f32 v[4:5], v[4:5], v[100:101]                    // 00000000B498: D3B14004 1802C904
	v_pk_mul_f32 v[6:7], v[6:7], v[102:103]                    // 00000000B4A0: D3B14006 1802CD06
	v_pk_mul_f32 v[4:5], v[4:5], s[60:61]                      // 00000000B4A8: D3B14004 18007904
	v_pk_mul_f32 v[6:7], v[6:7], s[60:61]                      // 00000000B4B0: D3B14006 18007906
	v_exp_f32_e32 v4, v4                                       // 00000000B4B8: 7E084104
	v_exp_f32_e32 v5, v5                                       // 00000000B4BC: 7E0A4105
	v_exp_f32_e32 v6, v6                                       // 00000000B4C0: 7E0C4106
	v_exp_f32_e32 v7, v7                                       // 00000000B4C4: 7E0E4107
	v_add_f32_e64 v4, v4, 1.0                                  // 00000000B4C8: D1010004 0001E504
	v_add_f32_e64 v5, v5, 1.0                                  // 00000000B4D0: D1010005 0001E505
	v_add_f32_e64 v6, v6, 1.0                                  // 00000000B4D8: D1010006 0001E506
	v_add_f32_e64 v7, v7, 1.0                                  // 00000000B4E0: D1010007 0001E507
	v_rcp_f32_e32 v4, v4                                       // 00000000B4E8: 7E084504
	v_rcp_f32_e32 v5, v5                                       // 00000000B4EC: 7E0A4505
	v_rcp_f32_e32 v6, v6                                       // 00000000B4F0: 7E0C4506
	v_rcp_f32_e32 v7, v7                                       // 00000000B4F4: 7E0E4507
	v_mul_f32_e32 v100, v100, v4                               // 00000000B4F8: 0AC80964
	v_mul_f32_e32 v101, v101, v5                               // 00000000B4FC: 0ACA0B65
	v_mul_f32_e32 v102, v102, v6                               // 00000000B500: 0ACC0D66
	v_mul_f32_e32 v103, v103, v7                               // 00000000B504: 0ACE0F67
	v_mul_f32_e32 v100, v100, v172                             // 00000000B508: 0AC95964
	v_mul_f32_e32 v101, v101, v173                             // 00000000B50C: 0ACB5B65
	v_mul_f32_e32 v102, v102, v174                             // 00000000B510: 0ACD5D66
	v_mul_f32_e32 v103, v103, v175                             // 00000000B514: 0ACF5F67
	v_pk_mul_f32 v[4:5], v[104:105], v[104:105]                // 00000000B518: D3B14004 1802D168
	v_pk_mul_f32 v[6:7], v[106:107], v[106:107]                // 00000000B520: D3B14006 1802D56A
	v_pk_fma_f32 v[4:5], v[4:5], s[78:79], v[8:9]              // 00000000B528: D3B04004 1C209D04
	v_pk_fma_f32 v[6:7], v[6:7], s[78:79], v[8:9]              // 00000000B530: D3B04006 1C209D06
	v_pk_mul_f32 v[4:5], v[4:5], v[104:105]                    // 00000000B538: D3B14004 1802D104
	v_pk_mul_f32 v[6:7], v[6:7], v[106:107]                    // 00000000B540: D3B14006 1802D506
	v_pk_mul_f32 v[4:5], v[4:5], s[60:61]                      // 00000000B548: D3B14004 18007904
	v_pk_mul_f32 v[6:7], v[6:7], s[60:61]                      // 00000000B550: D3B14006 18007906
	v_exp_f32_e32 v4, v4                                       // 00000000B558: 7E084104
	v_exp_f32_e32 v5, v5                                       // 00000000B55C: 7E0A4105
	v_exp_f32_e32 v6, v6                                       // 00000000B560: 7E0C4106
	v_exp_f32_e32 v7, v7                                       // 00000000B564: 7E0E4107
	v_add_f32_e64 v4, v4, 1.0                                  // 00000000B568: D1010004 0001E504
	v_add_f32_e64 v5, v5, 1.0                                  // 00000000B570: D1010005 0001E505
	v_add_f32_e64 v6, v6, 1.0                                  // 00000000B578: D1010006 0001E506
	v_add_f32_e64 v7, v7, 1.0                                  // 00000000B580: D1010007 0001E507
	v_rcp_f32_e32 v4, v4                                       // 00000000B588: 7E084504
	v_rcp_f32_e32 v5, v5                                       // 00000000B58C: 7E0A4505
	v_rcp_f32_e32 v6, v6                                       // 00000000B590: 7E0C4506
	v_rcp_f32_e32 v7, v7                                       // 00000000B594: 7E0E4507
	v_mul_f32_e32 v104, v104, v4                               // 00000000B598: 0AD00968
	v_mul_f32_e32 v105, v105, v5                               // 00000000B59C: 0AD20B69
	v_mul_f32_e32 v106, v106, v6                               // 00000000B5A0: 0AD40D6A
	v_mul_f32_e32 v107, v107, v7                               // 00000000B5A4: 0AD60F6B
	v_mul_f32_e32 v104, v104, v176                             // 00000000B5A8: 0AD16168
	v_mul_f32_e32 v105, v105, v177                             // 00000000B5AC: 0AD36369
	v_mul_f32_e32 v106, v106, v178                             // 00000000B5B0: 0AD5656A
	v_mul_f32_e32 v107, v107, v179                             // 00000000B5B4: 0AD7676B
	v_pk_mul_f32 v[4:5], v[108:109], v[108:109]                // 00000000B5B8: D3B14004 1802D96C
	v_pk_mul_f32 v[6:7], v[110:111], v[110:111]                // 00000000B5C0: D3B14006 1802DD6E
	v_pk_fma_f32 v[4:5], v[4:5], s[78:79], v[8:9]              // 00000000B5C8: D3B04004 1C209D04
	v_pk_fma_f32 v[6:7], v[6:7], s[78:79], v[8:9]              // 00000000B5D0: D3B04006 1C209D06
	v_pk_mul_f32 v[4:5], v[4:5], v[108:109]                    // 00000000B5D8: D3B14004 1802D904
	v_pk_mul_f32 v[6:7], v[6:7], v[110:111]                    // 00000000B5E0: D3B14006 1802DD06
	v_pk_mul_f32 v[4:5], v[4:5], s[60:61]                      // 00000000B5E8: D3B14004 18007904
	v_pk_mul_f32 v[6:7], v[6:7], s[60:61]                      // 00000000B5F0: D3B14006 18007906
	v_exp_f32_e32 v4, v4                                       // 00000000B5F8: 7E084104
	v_exp_f32_e32 v5, v5                                       // 00000000B5FC: 7E0A4105
	v_exp_f32_e32 v6, v6                                       // 00000000B600: 7E0C4106
	v_exp_f32_e32 v7, v7                                       // 00000000B604: 7E0E4107
	v_add_f32_e64 v4, v4, 1.0                                  // 00000000B608: D1010004 0001E504
	v_add_f32_e64 v5, v5, 1.0                                  // 00000000B610: D1010005 0001E505
	v_add_f32_e64 v6, v6, 1.0                                  // 00000000B618: D1010006 0001E506
	v_add_f32_e64 v7, v7, 1.0                                  // 00000000B620: D1010007 0001E507
	v_rcp_f32_e32 v4, v4                                       // 00000000B628: 7E084504
	v_rcp_f32_e32 v5, v5                                       // 00000000B62C: 7E0A4505
	v_rcp_f32_e32 v6, v6                                       // 00000000B630: 7E0C4506
	v_rcp_f32_e32 v7, v7                                       // 00000000B634: 7E0E4507
	v_mul_f32_e32 v108, v108, v4                               // 00000000B638: 0AD8096C
	v_mul_f32_e32 v109, v109, v5                               // 00000000B63C: 0ADA0B6D
	v_mul_f32_e32 v110, v110, v6                               // 00000000B640: 0ADC0D6E
	v_mul_f32_e32 v111, v111, v7                               // 00000000B644: 0ADE0F6F
	v_mul_f32_e32 v108, v108, v180                             // 00000000B648: 0AD9696C
	v_mul_f32_e32 v109, v109, v181                             // 00000000B64C: 0ADB6B6D
	v_mul_f32_e32 v110, v110, v182                             // 00000000B650: 0ADD6D6E
	v_mul_f32_e32 v111, v111, v183                             // 00000000B654: 0ADF6F6F
	v_pk_mul_f32 v[4:5], v[112:113], v[112:113]                // 00000000B658: D3B14004 1802E170
	v_pk_mul_f32 v[6:7], v[114:115], v[114:115]                // 00000000B660: D3B14006 1802E572
	v_pk_fma_f32 v[4:5], v[4:5], s[78:79], v[8:9]              // 00000000B668: D3B04004 1C209D04
	v_pk_fma_f32 v[6:7], v[6:7], s[78:79], v[8:9]              // 00000000B670: D3B04006 1C209D06
	v_pk_mul_f32 v[4:5], v[4:5], v[112:113]                    // 00000000B678: D3B14004 1802E104
	v_pk_mul_f32 v[6:7], v[6:7], v[114:115]                    // 00000000B680: D3B14006 1802E506
	v_pk_mul_f32 v[4:5], v[4:5], s[60:61]                      // 00000000B688: D3B14004 18007904
	v_pk_mul_f32 v[6:7], v[6:7], s[60:61]                      // 00000000B690: D3B14006 18007906
	v_exp_f32_e32 v4, v4                                       // 00000000B698: 7E084104
	v_exp_f32_e32 v5, v5                                       // 00000000B69C: 7E0A4105
	v_exp_f32_e32 v6, v6                                       // 00000000B6A0: 7E0C4106
	v_exp_f32_e32 v7, v7                                       // 00000000B6A4: 7E0E4107
	v_add_f32_e64 v4, v4, 1.0                                  // 00000000B6A8: D1010004 0001E504
	v_add_f32_e64 v5, v5, 1.0                                  // 00000000B6B0: D1010005 0001E505
	v_add_f32_e64 v6, v6, 1.0                                  // 00000000B6B8: D1010006 0001E506
	v_add_f32_e64 v7, v7, 1.0                                  // 00000000B6C0: D1010007 0001E507
	v_rcp_f32_e32 v4, v4                                       // 00000000B6C8: 7E084504
	v_rcp_f32_e32 v5, v5                                       // 00000000B6CC: 7E0A4505
	v_rcp_f32_e32 v6, v6                                       // 00000000B6D0: 7E0C4506
	v_rcp_f32_e32 v7, v7                                       // 00000000B6D4: 7E0E4507
	v_mul_f32_e32 v112, v112, v4                               // 00000000B6D8: 0AE00970
	v_mul_f32_e32 v113, v113, v5                               // 00000000B6DC: 0AE20B71
	v_mul_f32_e32 v114, v114, v6                               // 00000000B6E0: 0AE40D72
	v_mul_f32_e32 v115, v115, v7                               // 00000000B6E4: 0AE60F73
	v_mul_f32_e32 v112, v112, v184                             // 00000000B6E8: 0AE17170
	v_mul_f32_e32 v113, v113, v185                             // 00000000B6EC: 0AE37371
	v_mul_f32_e32 v114, v114, v186                             // 00000000B6F0: 0AE57572
	v_mul_f32_e32 v115, v115, v187                             // 00000000B6F4: 0AE77773
	v_pk_mul_f32 v[4:5], v[116:117], v[116:117]                // 00000000B6F8: D3B14004 1802E974
	v_pk_mul_f32 v[6:7], v[118:119], v[118:119]                // 00000000B700: D3B14006 1802ED76
	v_pk_fma_f32 v[4:5], v[4:5], s[78:79], v[8:9]              // 00000000B708: D3B04004 1C209D04
	v_pk_fma_f32 v[6:7], v[6:7], s[78:79], v[8:9]              // 00000000B710: D3B04006 1C209D06
	v_pk_mul_f32 v[4:5], v[4:5], v[116:117]                    // 00000000B718: D3B14004 1802E904
	v_pk_mul_f32 v[6:7], v[6:7], v[118:119]                    // 00000000B720: D3B14006 1802ED06
	v_pk_mul_f32 v[4:5], v[4:5], s[60:61]                      // 00000000B728: D3B14004 18007904
	v_pk_mul_f32 v[6:7], v[6:7], s[60:61]                      // 00000000B730: D3B14006 18007906
	v_exp_f32_e32 v4, v4                                       // 00000000B738: 7E084104
	v_exp_f32_e32 v5, v5                                       // 00000000B73C: 7E0A4105
	v_exp_f32_e32 v6, v6                                       // 00000000B740: 7E0C4106
	v_exp_f32_e32 v7, v7                                       // 00000000B744: 7E0E4107
	v_add_f32_e64 v4, v4, 1.0                                  // 00000000B748: D1010004 0001E504
	v_add_f32_e64 v5, v5, 1.0                                  // 00000000B750: D1010005 0001E505
	v_add_f32_e64 v6, v6, 1.0                                  // 00000000B758: D1010006 0001E506
	v_add_f32_e64 v7, v7, 1.0                                  // 00000000B760: D1010007 0001E507
	v_rcp_f32_e32 v4, v4                                       // 00000000B768: 7E084504
	v_rcp_f32_e32 v5, v5                                       // 00000000B76C: 7E0A4505
	v_rcp_f32_e32 v6, v6                                       // 00000000B770: 7E0C4506
	v_rcp_f32_e32 v7, v7                                       // 00000000B774: 7E0E4507
	v_mul_f32_e32 v116, v116, v4                               // 00000000B778: 0AE80974
	v_mul_f32_e32 v117, v117, v5                               // 00000000B77C: 0AEA0B75
	v_mul_f32_e32 v118, v118, v6                               // 00000000B780: 0AEC0D76
	v_mul_f32_e32 v119, v119, v7                               // 00000000B784: 0AEE0F77
	v_mul_f32_e32 v116, v116, v188                             // 00000000B788: 0AE97974
	v_mul_f32_e32 v117, v117, v189                             // 00000000B78C: 0AEB7B75
	v_mul_f32_e32 v118, v118, v190                             // 00000000B790: 0AED7D76
	v_mul_f32_e32 v119, v119, v191                             // 00000000B794: 0AEF7F77
	v_pk_mul_f32 v[4:5], v[120:121], v[120:121]                // 00000000B798: D3B14004 1802F178
	v_pk_mul_f32 v[6:7], v[122:123], v[122:123]                // 00000000B7A0: D3B14006 1802F57A
	v_pk_fma_f32 v[4:5], v[4:5], s[78:79], v[8:9]              // 00000000B7A8: D3B04004 1C209D04
	v_pk_fma_f32 v[6:7], v[6:7], s[78:79], v[8:9]              // 00000000B7B0: D3B04006 1C209D06
	v_pk_mul_f32 v[4:5], v[4:5], v[120:121]                    // 00000000B7B8: D3B14004 1802F104
	v_pk_mul_f32 v[6:7], v[6:7], v[122:123]                    // 00000000B7C0: D3B14006 1802F506
	v_pk_mul_f32 v[4:5], v[4:5], s[60:61]                      // 00000000B7C8: D3B14004 18007904
	v_pk_mul_f32 v[6:7], v[6:7], s[60:61]                      // 00000000B7D0: D3B14006 18007906
	v_exp_f32_e32 v4, v4                                       // 00000000B7D8: 7E084104
	v_exp_f32_e32 v5, v5                                       // 00000000B7DC: 7E0A4105
	v_exp_f32_e32 v6, v6                                       // 00000000B7E0: 7E0C4106
	v_exp_f32_e32 v7, v7                                       // 00000000B7E4: 7E0E4107
	v_add_f32_e64 v4, v4, 1.0                                  // 00000000B7E8: D1010004 0001E504
	v_add_f32_e64 v5, v5, 1.0                                  // 00000000B7F0: D1010005 0001E505
	v_add_f32_e64 v6, v6, 1.0                                  // 00000000B7F8: D1010006 0001E506
	v_add_f32_e64 v7, v7, 1.0                                  // 00000000B800: D1010007 0001E507
	v_rcp_f32_e32 v4, v4                                       // 00000000B808: 7E084504
	v_rcp_f32_e32 v5, v5                                       // 00000000B80C: 7E0A4505
	v_rcp_f32_e32 v6, v6                                       // 00000000B810: 7E0C4506
	v_rcp_f32_e32 v7, v7                                       // 00000000B814: 7E0E4507
	v_mul_f32_e32 v120, v120, v4                               // 00000000B818: 0AF00978
	v_mul_f32_e32 v121, v121, v5                               // 00000000B81C: 0AF20B79
	v_mul_f32_e32 v122, v122, v6                               // 00000000B820: 0AF40D7A
	v_mul_f32_e32 v123, v123, v7                               // 00000000B824: 0AF60F7B
	v_mul_f32_e32 v120, v120, v192                             // 00000000B828: 0AF18178
	v_mul_f32_e32 v121, v121, v193                             // 00000000B82C: 0AF38379
	v_mul_f32_e32 v122, v122, v194                             // 00000000B830: 0AF5857A
	v_mul_f32_e32 v123, v123, v195                             // 00000000B834: 0AF7877B
	v_pk_mul_f32 v[4:5], v[124:125], v[124:125]                // 00000000B838: D3B14004 1802F97C
	v_pk_mul_f32 v[6:7], v[126:127], v[126:127]                // 00000000B840: D3B14006 1802FD7E
	v_pk_fma_f32 v[4:5], v[4:5], s[78:79], v[8:9]              // 00000000B848: D3B04004 1C209D04
	v_pk_fma_f32 v[6:7], v[6:7], s[78:79], v[8:9]              // 00000000B850: D3B04006 1C209D06
	v_pk_mul_f32 v[4:5], v[4:5], v[124:125]                    // 00000000B858: D3B14004 1802F904
	v_pk_mul_f32 v[6:7], v[6:7], v[126:127]                    // 00000000B860: D3B14006 1802FD06
	v_pk_mul_f32 v[4:5], v[4:5], s[60:61]                      // 00000000B868: D3B14004 18007904
	v_pk_mul_f32 v[6:7], v[6:7], s[60:61]                      // 00000000B870: D3B14006 18007906
	v_exp_f32_e32 v4, v4                                       // 00000000B878: 7E084104
	v_exp_f32_e32 v5, v5                                       // 00000000B87C: 7E0A4105
	v_exp_f32_e32 v6, v6                                       // 00000000B880: 7E0C4106
	v_exp_f32_e32 v7, v7                                       // 00000000B884: 7E0E4107
	v_add_f32_e64 v4, v4, 1.0                                  // 00000000B888: D1010004 0001E504
	v_add_f32_e64 v5, v5, 1.0                                  // 00000000B890: D1010005 0001E505
	v_add_f32_e64 v6, v6, 1.0                                  // 00000000B898: D1010006 0001E506
	v_add_f32_e64 v7, v7, 1.0                                  // 00000000B8A0: D1010007 0001E507
	v_rcp_f32_e32 v4, v4                                       // 00000000B8A8: 7E084504
	v_rcp_f32_e32 v5, v5                                       // 00000000B8AC: 7E0A4505
	v_rcp_f32_e32 v6, v6                                       // 00000000B8B0: 7E0C4506
	v_rcp_f32_e32 v7, v7                                       // 00000000B8B4: 7E0E4507
	v_mul_f32_e32 v124, v124, v4                               // 00000000B8B8: 0AF8097C
	v_mul_f32_e32 v125, v125, v5                               // 00000000B8BC: 0AFA0B7D
	v_mul_f32_e32 v126, v126, v6                               // 00000000B8C0: 0AFC0D7E
	v_mul_f32_e32 v127, v127, v7                               // 00000000B8C4: 0AFE0F7F
	v_mul_f32_e32 v124, v124, v196                             // 00000000B8C8: 0AF9897C
	v_mul_f32_e32 v125, v125, v197                             // 00000000B8CC: 0AFB8B7D
	v_mul_f32_e32 v126, v126, v198                             // 00000000B8D0: 0AFD8D7E
	v_mul_f32_e32 v127, v127, v199                             // 00000000B8D4: 0AFF8F7F
	v_pk_mul_f32 v[4:5], v[128:129], v[128:129]                // 00000000B8D8: D3B14004 18030180
	v_pk_mul_f32 v[6:7], v[130:131], v[130:131]                // 00000000B8E0: D3B14006 18030582
	v_pk_fma_f32 v[4:5], v[4:5], s[78:79], v[8:9]              // 00000000B8E8: D3B04004 1C209D04
	v_pk_fma_f32 v[6:7], v[6:7], s[78:79], v[8:9]              // 00000000B8F0: D3B04006 1C209D06
	v_pk_mul_f32 v[4:5], v[4:5], v[128:129]                    // 00000000B8F8: D3B14004 18030104
	v_pk_mul_f32 v[6:7], v[6:7], v[130:131]                    // 00000000B900: D3B14006 18030506
	v_pk_mul_f32 v[4:5], v[4:5], s[60:61]                      // 00000000B908: D3B14004 18007904
	v_pk_mul_f32 v[6:7], v[6:7], s[60:61]                      // 00000000B910: D3B14006 18007906
	v_exp_f32_e32 v4, v4                                       // 00000000B918: 7E084104
	v_exp_f32_e32 v5, v5                                       // 00000000B91C: 7E0A4105
	v_exp_f32_e32 v6, v6                                       // 00000000B920: 7E0C4106
	v_exp_f32_e32 v7, v7                                       // 00000000B924: 7E0E4107
	v_add_f32_e64 v4, v4, 1.0                                  // 00000000B928: D1010004 0001E504
	v_add_f32_e64 v5, v5, 1.0                                  // 00000000B930: D1010005 0001E505
	v_add_f32_e64 v6, v6, 1.0                                  // 00000000B938: D1010006 0001E506
	v_add_f32_e64 v7, v7, 1.0                                  // 00000000B940: D1010007 0001E507
	v_rcp_f32_e32 v4, v4                                       // 00000000B948: 7E084504
	v_rcp_f32_e32 v5, v5                                       // 00000000B94C: 7E0A4505
	v_rcp_f32_e32 v6, v6                                       // 00000000B950: 7E0C4506
	v_rcp_f32_e32 v7, v7                                       // 00000000B954: 7E0E4507
	v_mul_f32_e32 v128, v128, v4                               // 00000000B958: 0B000980
	v_mul_f32_e32 v129, v129, v5                               // 00000000B95C: 0B020B81
	v_mul_f32_e32 v130, v130, v6                               // 00000000B960: 0B040D82
	v_mul_f32_e32 v131, v131, v7                               // 00000000B964: 0B060F83
	v_mul_f32_e32 v128, v128, v200                             // 00000000B968: 0B019180
	v_mul_f32_e32 v129, v129, v201                             // 00000000B96C: 0B039381
	v_mul_f32_e32 v130, v130, v202                             // 00000000B970: 0B059582
	v_mul_f32_e32 v131, v131, v203                             // 00000000B974: 0B079783
	v_pk_mul_f32 v[4:5], v[132:133], v[132:133]                // 00000000B978: D3B14004 18030984
	v_pk_mul_f32 v[6:7], v[134:135], v[134:135]                // 00000000B980: D3B14006 18030D86
	v_pk_fma_f32 v[4:5], v[4:5], s[78:79], v[8:9]              // 00000000B988: D3B04004 1C209D04
	v_pk_fma_f32 v[6:7], v[6:7], s[78:79], v[8:9]              // 00000000B990: D3B04006 1C209D06
	v_pk_mul_f32 v[4:5], v[4:5], v[132:133]                    // 00000000B998: D3B14004 18030904
	v_pk_mul_f32 v[6:7], v[6:7], v[134:135]                    // 00000000B9A0: D3B14006 18030D06
	v_pk_mul_f32 v[4:5], v[4:5], s[60:61]                      // 00000000B9A8: D3B14004 18007904
	v_pk_mul_f32 v[6:7], v[6:7], s[60:61]                      // 00000000B9B0: D3B14006 18007906
	v_exp_f32_e32 v4, v4                                       // 00000000B9B8: 7E084104
	v_exp_f32_e32 v5, v5                                       // 00000000B9BC: 7E0A4105
	v_exp_f32_e32 v6, v6                                       // 00000000B9C0: 7E0C4106
	v_exp_f32_e32 v7, v7                                       // 00000000B9C4: 7E0E4107
	v_add_f32_e64 v4, v4, 1.0                                  // 00000000B9C8: D1010004 0001E504
	v_add_f32_e64 v5, v5, 1.0                                  // 00000000B9D0: D1010005 0001E505
	v_add_f32_e64 v6, v6, 1.0                                  // 00000000B9D8: D1010006 0001E506
	v_add_f32_e64 v7, v7, 1.0                                  // 00000000B9E0: D1010007 0001E507
	v_rcp_f32_e32 v4, v4                                       // 00000000B9E8: 7E084504
	v_rcp_f32_e32 v5, v5                                       // 00000000B9EC: 7E0A4505
	v_rcp_f32_e32 v6, v6                                       // 00000000B9F0: 7E0C4506
	v_rcp_f32_e32 v7, v7                                       // 00000000B9F4: 7E0E4507
	v_mul_f32_e32 v132, v132, v4                               // 00000000B9F8: 0B080984
	v_mul_f32_e32 v133, v133, v5                               // 00000000B9FC: 0B0A0B85
	v_mul_f32_e32 v134, v134, v6                               // 00000000BA00: 0B0C0D86
	v_mul_f32_e32 v135, v135, v7                               // 00000000BA04: 0B0E0F87
	v_mul_f32_e32 v132, v132, v204                             // 00000000BA08: 0B099984
	v_mul_f32_e32 v133, v133, v205                             // 00000000BA0C: 0B0B9B85
	v_mul_f32_e32 v134, v134, v206                             // 00000000BA10: 0B0D9D86
	v_mul_f32_e32 v135, v135, v207                             // 00000000BA14: 0B0F9F87
	v_pk_mul_f32 v[4:5], v[136:137], v[136:137]                // 00000000BA18: D3B14004 18031188
	v_pk_mul_f32 v[6:7], v[138:139], v[138:139]                // 00000000BA20: D3B14006 1803158A
	v_pk_fma_f32 v[4:5], v[4:5], s[78:79], v[8:9]              // 00000000BA28: D3B04004 1C209D04
	v_pk_fma_f32 v[6:7], v[6:7], s[78:79], v[8:9]              // 00000000BA30: D3B04006 1C209D06
	v_pk_mul_f32 v[4:5], v[4:5], v[136:137]                    // 00000000BA38: D3B14004 18031104
	v_pk_mul_f32 v[6:7], v[6:7], v[138:139]                    // 00000000BA40: D3B14006 18031506
	v_pk_mul_f32 v[4:5], v[4:5], s[60:61]                      // 00000000BA48: D3B14004 18007904
	v_pk_mul_f32 v[6:7], v[6:7], s[60:61]                      // 00000000BA50: D3B14006 18007906
	v_exp_f32_e32 v4, v4                                       // 00000000BA58: 7E084104
	v_exp_f32_e32 v5, v5                                       // 00000000BA5C: 7E0A4105
	v_exp_f32_e32 v6, v6                                       // 00000000BA60: 7E0C4106
	v_exp_f32_e32 v7, v7                                       // 00000000BA64: 7E0E4107
	v_add_f32_e64 v4, v4, 1.0                                  // 00000000BA68: D1010004 0001E504
	v_add_f32_e64 v5, v5, 1.0                                  // 00000000BA70: D1010005 0001E505
	v_add_f32_e64 v6, v6, 1.0                                  // 00000000BA78: D1010006 0001E506
	v_add_f32_e64 v7, v7, 1.0                                  // 00000000BA80: D1010007 0001E507
	v_rcp_f32_e32 v4, v4                                       // 00000000BA88: 7E084504
	v_rcp_f32_e32 v5, v5                                       // 00000000BA8C: 7E0A4505
	v_rcp_f32_e32 v6, v6                                       // 00000000BA90: 7E0C4506
	v_rcp_f32_e32 v7, v7                                       // 00000000BA94: 7E0E4507
	v_mul_f32_e32 v136, v136, v4                               // 00000000BA98: 0B100988
	v_mul_f32_e32 v137, v137, v5                               // 00000000BA9C: 0B120B89
	v_mul_f32_e32 v138, v138, v6                               // 00000000BAA0: 0B140D8A
	v_mul_f32_e32 v139, v139, v7                               // 00000000BAA4: 0B160F8B
	v_mul_f32_e32 v136, v136, v208                             // 00000000BAA8: 0B11A188
	v_mul_f32_e32 v137, v137, v209                             // 00000000BAAC: 0B13A389
	v_mul_f32_e32 v138, v138, v210                             // 00000000BAB0: 0B15A58A
	v_mul_f32_e32 v139, v139, v211                             // 00000000BAB4: 0B17A78B
	v_pk_mul_f32 v[4:5], v[140:141], v[140:141]                // 00000000BAB8: D3B14004 1803198C
	v_pk_mul_f32 v[6:7], v[142:143], v[142:143]                // 00000000BAC0: D3B14006 18031D8E
	v_pk_fma_f32 v[4:5], v[4:5], s[78:79], v[8:9]              // 00000000BAC8: D3B04004 1C209D04
	v_pk_fma_f32 v[6:7], v[6:7], s[78:79], v[8:9]              // 00000000BAD0: D3B04006 1C209D06
	v_pk_mul_f32 v[4:5], v[4:5], v[140:141]                    // 00000000BAD8: D3B14004 18031904
	v_pk_mul_f32 v[6:7], v[6:7], v[142:143]                    // 00000000BAE0: D3B14006 18031D06
	v_pk_mul_f32 v[4:5], v[4:5], s[60:61]                      // 00000000BAE8: D3B14004 18007904
	v_pk_mul_f32 v[6:7], v[6:7], s[60:61]                      // 00000000BAF0: D3B14006 18007906
	v_exp_f32_e32 v4, v4                                       // 00000000BAF8: 7E084104
	v_exp_f32_e32 v5, v5                                       // 00000000BAFC: 7E0A4105
	v_exp_f32_e32 v6, v6                                       // 00000000BB00: 7E0C4106
	v_exp_f32_e32 v7, v7                                       // 00000000BB04: 7E0E4107
	v_add_f32_e64 v4, v4, 1.0                                  // 00000000BB08: D1010004 0001E504
	v_add_f32_e64 v5, v5, 1.0                                  // 00000000BB10: D1010005 0001E505
	v_add_f32_e64 v6, v6, 1.0                                  // 00000000BB18: D1010006 0001E506
	v_add_f32_e64 v7, v7, 1.0                                  // 00000000BB20: D1010007 0001E507
	v_rcp_f32_e32 v4, v4                                       // 00000000BB28: 7E084504
	v_rcp_f32_e32 v5, v5                                       // 00000000BB2C: 7E0A4505
	v_rcp_f32_e32 v6, v6                                       // 00000000BB30: 7E0C4506
	v_rcp_f32_e32 v7, v7                                       // 00000000BB34: 7E0E4507
	v_mul_f32_e32 v140, v140, v4                               // 00000000BB38: 0B18098C
	v_mul_f32_e32 v141, v141, v5                               // 00000000BB3C: 0B1A0B8D
	v_mul_f32_e32 v142, v142, v6                               // 00000000BB40: 0B1C0D8E
	v_mul_f32_e32 v143, v143, v7                               // 00000000BB44: 0B1E0F8F
	v_mul_f32_e32 v140, v140, v212                             // 00000000BB48: 0B19A98C
	v_mul_f32_e32 v141, v141, v213                             // 00000000BB4C: 0B1BAB8D
	v_mul_f32_e32 v142, v142, v214                             // 00000000BB50: 0B1DAD8E
	v_mul_f32_e32 v143, v143, v215                             // 00000000BB54: 0B1FAF8F
	v_pk_mul_f32 v[4:5], v[144:145], v[144:145]                // 00000000BB58: D3B14004 18032190
	v_pk_mul_f32 v[6:7], v[146:147], v[146:147]                // 00000000BB60: D3B14006 18032592
	v_pk_fma_f32 v[4:5], v[4:5], s[78:79], v[8:9]              // 00000000BB68: D3B04004 1C209D04
	v_pk_fma_f32 v[6:7], v[6:7], s[78:79], v[8:9]              // 00000000BB70: D3B04006 1C209D06
	v_pk_mul_f32 v[4:5], v[4:5], v[144:145]                    // 00000000BB78: D3B14004 18032104
	v_pk_mul_f32 v[6:7], v[6:7], v[146:147]                    // 00000000BB80: D3B14006 18032506
	v_pk_mul_f32 v[4:5], v[4:5], s[60:61]                      // 00000000BB88: D3B14004 18007904
	v_pk_mul_f32 v[6:7], v[6:7], s[60:61]                      // 00000000BB90: D3B14006 18007906
	v_exp_f32_e32 v4, v4                                       // 00000000BB98: 7E084104
	v_exp_f32_e32 v5, v5                                       // 00000000BB9C: 7E0A4105
	v_exp_f32_e32 v6, v6                                       // 00000000BBA0: 7E0C4106
	v_exp_f32_e32 v7, v7                                       // 00000000BBA4: 7E0E4107
	v_add_f32_e64 v4, v4, 1.0                                  // 00000000BBA8: D1010004 0001E504
	v_add_f32_e64 v5, v5, 1.0                                  // 00000000BBB0: D1010005 0001E505
	v_add_f32_e64 v6, v6, 1.0                                  // 00000000BBB8: D1010006 0001E506
	v_add_f32_e64 v7, v7, 1.0                                  // 00000000BBC0: D1010007 0001E507
	v_rcp_f32_e32 v4, v4                                       // 00000000BBC8: 7E084504
	v_rcp_f32_e32 v5, v5                                       // 00000000BBCC: 7E0A4505
	v_rcp_f32_e32 v6, v6                                       // 00000000BBD0: 7E0C4506
	v_rcp_f32_e32 v7, v7                                       // 00000000BBD4: 7E0E4507
	v_mul_f32_e32 v144, v144, v4                               // 00000000BBD8: 0B200990
	v_mul_f32_e32 v145, v145, v5                               // 00000000BBDC: 0B220B91
	v_mul_f32_e32 v146, v146, v6                               // 00000000BBE0: 0B240D92
	v_mul_f32_e32 v147, v147, v7                               // 00000000BBE4: 0B260F93
	v_mul_f32_e32 v144, v144, v216                             // 00000000BBE8: 0B21B190
	v_mul_f32_e32 v145, v145, v217                             // 00000000BBEC: 0B23B391
	v_mul_f32_e32 v146, v146, v218                             // 00000000BBF0: 0B25B592
	v_mul_f32_e32 v147, v147, v219                             // 00000000BBF4: 0B27B793
	v_pk_mul_f32 v[4:5], v[148:149], v[148:149]                // 00000000BBF8: D3B14004 18032994
	v_pk_mul_f32 v[6:7], v[150:151], v[150:151]                // 00000000BC00: D3B14006 18032D96
	v_pk_fma_f32 v[4:5], v[4:5], s[78:79], v[8:9]              // 00000000BC08: D3B04004 1C209D04
	v_pk_fma_f32 v[6:7], v[6:7], s[78:79], v[8:9]              // 00000000BC10: D3B04006 1C209D06
	v_pk_mul_f32 v[4:5], v[4:5], v[148:149]                    // 00000000BC18: D3B14004 18032904
	v_pk_mul_f32 v[6:7], v[6:7], v[150:151]                    // 00000000BC20: D3B14006 18032D06
	v_pk_mul_f32 v[4:5], v[4:5], s[60:61]                      // 00000000BC28: D3B14004 18007904
	v_pk_mul_f32 v[6:7], v[6:7], s[60:61]                      // 00000000BC30: D3B14006 18007906
	v_exp_f32_e32 v4, v4                                       // 00000000BC38: 7E084104
	v_exp_f32_e32 v5, v5                                       // 00000000BC3C: 7E0A4105
	v_exp_f32_e32 v6, v6                                       // 00000000BC40: 7E0C4106
	v_exp_f32_e32 v7, v7                                       // 00000000BC44: 7E0E4107
	v_add_f32_e64 v4, v4, 1.0                                  // 00000000BC48: D1010004 0001E504
	v_add_f32_e64 v5, v5, 1.0                                  // 00000000BC50: D1010005 0001E505
	v_add_f32_e64 v6, v6, 1.0                                  // 00000000BC58: D1010006 0001E506
	v_add_f32_e64 v7, v7, 1.0                                  // 00000000BC60: D1010007 0001E507
	v_rcp_f32_e32 v4, v4                                       // 00000000BC68: 7E084504
	v_rcp_f32_e32 v5, v5                                       // 00000000BC6C: 7E0A4505
	v_rcp_f32_e32 v6, v6                                       // 00000000BC70: 7E0C4506
	v_rcp_f32_e32 v7, v7                                       // 00000000BC74: 7E0E4507
	v_mul_f32_e32 v148, v148, v4                               // 00000000BC78: 0B280994
	v_mul_f32_e32 v149, v149, v5                               // 00000000BC7C: 0B2A0B95
	v_mul_f32_e32 v150, v150, v6                               // 00000000BC80: 0B2C0D96
	v_mul_f32_e32 v151, v151, v7                               // 00000000BC84: 0B2E0F97
	v_mul_f32_e32 v148, v148, v220                             // 00000000BC88: 0B29B994
	v_mul_f32_e32 v149, v149, v221                             // 00000000BC8C: 0B2BBB95
	v_mul_f32_e32 v150, v150, v222                             // 00000000BC90: 0B2DBD96
	v_mul_f32_e32 v151, v151, v223                             // 00000000BC94: 0B2FBF97
	v_pk_mul_f32 v[4:5], v[152:153], v[152:153]                // 00000000BC98: D3B14004 18033198
	v_pk_mul_f32 v[6:7], v[154:155], v[154:155]                // 00000000BCA0: D3B14006 1803359A
	v_pk_fma_f32 v[4:5], v[4:5], s[78:79], v[8:9]              // 00000000BCA8: D3B04004 1C209D04
	v_pk_fma_f32 v[6:7], v[6:7], s[78:79], v[8:9]              // 00000000BCB0: D3B04006 1C209D06
	v_pk_mul_f32 v[4:5], v[4:5], v[152:153]                    // 00000000BCB8: D3B14004 18033104
	v_pk_mul_f32 v[6:7], v[6:7], v[154:155]                    // 00000000BCC0: D3B14006 18033506
	v_pk_mul_f32 v[4:5], v[4:5], s[60:61]                      // 00000000BCC8: D3B14004 18007904
	v_pk_mul_f32 v[6:7], v[6:7], s[60:61]                      // 00000000BCD0: D3B14006 18007906
	v_exp_f32_e32 v4, v4                                       // 00000000BCD8: 7E084104
	v_exp_f32_e32 v5, v5                                       // 00000000BCDC: 7E0A4105
	v_exp_f32_e32 v6, v6                                       // 00000000BCE0: 7E0C4106
	v_exp_f32_e32 v7, v7                                       // 00000000BCE4: 7E0E4107
	v_add_f32_e64 v4, v4, 1.0                                  // 00000000BCE8: D1010004 0001E504
	v_add_f32_e64 v5, v5, 1.0                                  // 00000000BCF0: D1010005 0001E505
	v_add_f32_e64 v6, v6, 1.0                                  // 00000000BCF8: D1010006 0001E506
	v_add_f32_e64 v7, v7, 1.0                                  // 00000000BD00: D1010007 0001E507
	v_rcp_f32_e32 v4, v4                                       // 00000000BD08: 7E084504
	v_rcp_f32_e32 v5, v5                                       // 00000000BD0C: 7E0A4505
	v_rcp_f32_e32 v6, v6                                       // 00000000BD10: 7E0C4506
	v_rcp_f32_e32 v7, v7                                       // 00000000BD14: 7E0E4507
	v_mul_f32_e32 v152, v152, v4                               // 00000000BD18: 0B300998
	v_mul_f32_e32 v153, v153, v5                               // 00000000BD1C: 0B320B99
	v_mul_f32_e32 v154, v154, v6                               // 00000000BD20: 0B340D9A
	v_mul_f32_e32 v155, v155, v7                               // 00000000BD24: 0B360F9B
	v_mul_f32_e32 v152, v152, v224                             // 00000000BD28: 0B31C198
	v_mul_f32_e32 v153, v153, v225                             // 00000000BD2C: 0B33C399
	v_mul_f32_e32 v154, v154, v226                             // 00000000BD30: 0B35C59A
	v_mul_f32_e32 v155, v155, v227                             // 00000000BD34: 0B37C79B
	s_branch label_2712                                        // 00000000BD38: BF820240

000000000000bd3c <label_24D2>:
	v_mul_f32_e64 v4, -v84, s6                                 // 00000000BD3C: D1050004 20000D54
	v_mul_f32_e64 v5, -v85, s6                                 // 00000000BD44: D1050005 20000D55
	v_mul_f32_e64 v6, -v86, s6                                 // 00000000BD4C: D1050006 20000D56
	v_mul_f32_e64 v7, -v87, s6                                 // 00000000BD54: D1050007 20000D57
	v_exp_f32_e32 v4, v4                                       // 00000000BD5C: 7E084104
	v_exp_f32_e32 v5, v5                                       // 00000000BD60: 7E0A4105
	v_exp_f32_e32 v6, v6                                       // 00000000BD64: 7E0C4106
	v_exp_f32_e32 v7, v7                                       // 00000000BD68: 7E0E4107
	v_add_f32_e64 v4, v4, 1.0                                  // 00000000BD6C: D1010004 0001E504
	v_add_f32_e64 v5, v5, 1.0                                  // 00000000BD74: D1010005 0001E505
	v_add_f32_e64 v6, v6, 1.0                                  // 00000000BD7C: D1010006 0001E506
	v_add_f32_e64 v7, v7, 1.0                                  // 00000000BD84: D1010007 0001E507
	v_rcp_f32_e32 v4, v4                                       // 00000000BD8C: 7E084504
	v_rcp_f32_e32 v5, v5                                       // 00000000BD90: 7E0A4505
	v_rcp_f32_e32 v6, v6                                       // 00000000BD94: 7E0C4506
	v_rcp_f32_e32 v7, v7                                       // 00000000BD98: 7E0E4507
	v_mul_f32_e32 v84, v84, v4                                 // 00000000BD9C: 0AA80954
	v_mul_f32_e32 v85, v85, v5                                 // 00000000BDA0: 0AAA0B55
	v_mul_f32_e32 v86, v86, v6                                 // 00000000BDA4: 0AAC0D56
	v_mul_f32_e32 v87, v87, v7                                 // 00000000BDA8: 0AAE0F57
	v_mul_f32_e32 v84, v84, v156                               // 00000000BDAC: 0AA93954
	v_mul_f32_e32 v85, v85, v157                               // 00000000BDB0: 0AAB3B55
	v_mul_f32_e32 v86, v86, v158                               // 00000000BDB4: 0AAD3D56
	v_mul_f32_e32 v87, v87, v159                               // 00000000BDB8: 0AAF3F57
	v_mul_f32_e64 v4, -v88, s6                                 // 00000000BDBC: D1050004 20000D58
	v_mul_f32_e64 v5, -v89, s6                                 // 00000000BDC4: D1050005 20000D59
	v_mul_f32_e64 v6, -v90, s6                                 // 00000000BDCC: D1050006 20000D5A
	v_mul_f32_e64 v7, -v91, s6                                 // 00000000BDD4: D1050007 20000D5B
	v_exp_f32_e32 v4, v4                                       // 00000000BDDC: 7E084104
	v_exp_f32_e32 v5, v5                                       // 00000000BDE0: 7E0A4105
	v_exp_f32_e32 v6, v6                                       // 00000000BDE4: 7E0C4106
	v_exp_f32_e32 v7, v7                                       // 00000000BDE8: 7E0E4107
	v_add_f32_e64 v4, v4, 1.0                                  // 00000000BDEC: D1010004 0001E504
	v_add_f32_e64 v5, v5, 1.0                                  // 00000000BDF4: D1010005 0001E505
	v_add_f32_e64 v6, v6, 1.0                                  // 00000000BDFC: D1010006 0001E506
	v_add_f32_e64 v7, v7, 1.0                                  // 00000000BE04: D1010007 0001E507
	v_rcp_f32_e32 v4, v4                                       // 00000000BE0C: 7E084504
	v_rcp_f32_e32 v5, v5                                       // 00000000BE10: 7E0A4505
	v_rcp_f32_e32 v6, v6                                       // 00000000BE14: 7E0C4506
	v_rcp_f32_e32 v7, v7                                       // 00000000BE18: 7E0E4507
	v_mul_f32_e32 v88, v88, v4                                 // 00000000BE1C: 0AB00958
	v_mul_f32_e32 v89, v89, v5                                 // 00000000BE20: 0AB20B59
	v_mul_f32_e32 v90, v90, v6                                 // 00000000BE24: 0AB40D5A
	v_mul_f32_e32 v91, v91, v7                                 // 00000000BE28: 0AB60F5B
	v_mul_f32_e32 v88, v88, v160                               // 00000000BE2C: 0AB14158
	v_mul_f32_e32 v89, v89, v161                               // 00000000BE30: 0AB34359
	v_mul_f32_e32 v90, v90, v162                               // 00000000BE34: 0AB5455A
	v_mul_f32_e32 v91, v91, v163                               // 00000000BE38: 0AB7475B
	v_mul_f32_e64 v4, -v92, s6                                 // 00000000BE3C: D1050004 20000D5C
	v_mul_f32_e64 v5, -v93, s6                                 // 00000000BE44: D1050005 20000D5D
	v_mul_f32_e64 v6, -v94, s6                                 // 00000000BE4C: D1050006 20000D5E
	v_mul_f32_e64 v7, -v95, s6                                 // 00000000BE54: D1050007 20000D5F
	v_exp_f32_e32 v4, v4                                       // 00000000BE5C: 7E084104
	v_exp_f32_e32 v5, v5                                       // 00000000BE60: 7E0A4105
	v_exp_f32_e32 v6, v6                                       // 00000000BE64: 7E0C4106
	v_exp_f32_e32 v7, v7                                       // 00000000BE68: 7E0E4107
	v_add_f32_e64 v4, v4, 1.0                                  // 00000000BE6C: D1010004 0001E504
	v_add_f32_e64 v5, v5, 1.0                                  // 00000000BE74: D1010005 0001E505
	v_add_f32_e64 v6, v6, 1.0                                  // 00000000BE7C: D1010006 0001E506
	v_add_f32_e64 v7, v7, 1.0                                  // 00000000BE84: D1010007 0001E507
	v_rcp_f32_e32 v4, v4                                       // 00000000BE8C: 7E084504
	v_rcp_f32_e32 v5, v5                                       // 00000000BE90: 7E0A4505
	v_rcp_f32_e32 v6, v6                                       // 00000000BE94: 7E0C4506
	v_rcp_f32_e32 v7, v7                                       // 00000000BE98: 7E0E4507
	v_mul_f32_e32 v92, v92, v4                                 // 00000000BE9C: 0AB8095C
	v_mul_f32_e32 v93, v93, v5                                 // 00000000BEA0: 0ABA0B5D
	v_mul_f32_e32 v94, v94, v6                                 // 00000000BEA4: 0ABC0D5E
	v_mul_f32_e32 v95, v95, v7                                 // 00000000BEA8: 0ABE0F5F
	v_mul_f32_e32 v92, v92, v164                               // 00000000BEAC: 0AB9495C
	v_mul_f32_e32 v93, v93, v165                               // 00000000BEB0: 0ABB4B5D
	v_mul_f32_e32 v94, v94, v166                               // 00000000BEB4: 0ABD4D5E
	v_mul_f32_e32 v95, v95, v167                               // 00000000BEB8: 0ABF4F5F
	v_mul_f32_e64 v4, -v96, s6                                 // 00000000BEBC: D1050004 20000D60
	v_mul_f32_e64 v5, -v97, s6                                 // 00000000BEC4: D1050005 20000D61
	v_mul_f32_e64 v6, -v98, s6                                 // 00000000BECC: D1050006 20000D62
	v_mul_f32_e64 v7, -v99, s6                                 // 00000000BED4: D1050007 20000D63
	v_exp_f32_e32 v4, v4                                       // 00000000BEDC: 7E084104
	v_exp_f32_e32 v5, v5                                       // 00000000BEE0: 7E0A4105
	v_exp_f32_e32 v6, v6                                       // 00000000BEE4: 7E0C4106
	v_exp_f32_e32 v7, v7                                       // 00000000BEE8: 7E0E4107
	v_add_f32_e64 v4, v4, 1.0                                  // 00000000BEEC: D1010004 0001E504
	v_add_f32_e64 v5, v5, 1.0                                  // 00000000BEF4: D1010005 0001E505
	v_add_f32_e64 v6, v6, 1.0                                  // 00000000BEFC: D1010006 0001E506
	v_add_f32_e64 v7, v7, 1.0                                  // 00000000BF04: D1010007 0001E507
	v_rcp_f32_e32 v4, v4                                       // 00000000BF0C: 7E084504
	v_rcp_f32_e32 v5, v5                                       // 00000000BF10: 7E0A4505
	v_rcp_f32_e32 v6, v6                                       // 00000000BF14: 7E0C4506
	v_rcp_f32_e32 v7, v7                                       // 00000000BF18: 7E0E4507
	v_mul_f32_e32 v96, v96, v4                                 // 00000000BF1C: 0AC00960
	v_mul_f32_e32 v97, v97, v5                                 // 00000000BF20: 0AC20B61
	v_mul_f32_e32 v98, v98, v6                                 // 00000000BF24: 0AC40D62
	v_mul_f32_e32 v99, v99, v7                                 // 00000000BF28: 0AC60F63
	v_mul_f32_e32 v96, v96, v168                               // 00000000BF2C: 0AC15160
	v_mul_f32_e32 v97, v97, v169                               // 00000000BF30: 0AC35361
	v_mul_f32_e32 v98, v98, v170                               // 00000000BF34: 0AC55562
	v_mul_f32_e32 v99, v99, v171                               // 00000000BF38: 0AC75763
	v_mul_f32_e64 v4, -v100, s6                                // 00000000BF3C: D1050004 20000D64
	v_mul_f32_e64 v5, -v101, s6                                // 00000000BF44: D1050005 20000D65
	v_mul_f32_e64 v6, -v102, s6                                // 00000000BF4C: D1050006 20000D66
	v_mul_f32_e64 v7, -v103, s6                                // 00000000BF54: D1050007 20000D67
	v_exp_f32_e32 v4, v4                                       // 00000000BF5C: 7E084104
	v_exp_f32_e32 v5, v5                                       // 00000000BF60: 7E0A4105
	v_exp_f32_e32 v6, v6                                       // 00000000BF64: 7E0C4106
	v_exp_f32_e32 v7, v7                                       // 00000000BF68: 7E0E4107
	v_add_f32_e64 v4, v4, 1.0                                  // 00000000BF6C: D1010004 0001E504
	v_add_f32_e64 v5, v5, 1.0                                  // 00000000BF74: D1010005 0001E505
	v_add_f32_e64 v6, v6, 1.0                                  // 00000000BF7C: D1010006 0001E506
	v_add_f32_e64 v7, v7, 1.0                                  // 00000000BF84: D1010007 0001E507
	v_rcp_f32_e32 v4, v4                                       // 00000000BF8C: 7E084504
	v_rcp_f32_e32 v5, v5                                       // 00000000BF90: 7E0A4505
	v_rcp_f32_e32 v6, v6                                       // 00000000BF94: 7E0C4506
	v_rcp_f32_e32 v7, v7                                       // 00000000BF98: 7E0E4507
	v_mul_f32_e32 v100, v100, v4                               // 00000000BF9C: 0AC80964
	v_mul_f32_e32 v101, v101, v5                               // 00000000BFA0: 0ACA0B65
	v_mul_f32_e32 v102, v102, v6                               // 00000000BFA4: 0ACC0D66
	v_mul_f32_e32 v103, v103, v7                               // 00000000BFA8: 0ACE0F67
	v_mul_f32_e32 v100, v100, v172                             // 00000000BFAC: 0AC95964
	v_mul_f32_e32 v101, v101, v173                             // 00000000BFB0: 0ACB5B65
	v_mul_f32_e32 v102, v102, v174                             // 00000000BFB4: 0ACD5D66
	v_mul_f32_e32 v103, v103, v175                             // 00000000BFB8: 0ACF5F67
	v_mul_f32_e64 v4, -v104, s6                                // 00000000BFBC: D1050004 20000D68
	v_mul_f32_e64 v5, -v105, s6                                // 00000000BFC4: D1050005 20000D69
	v_mul_f32_e64 v6, -v106, s6                                // 00000000BFCC: D1050006 20000D6A
	v_mul_f32_e64 v7, -v107, s6                                // 00000000BFD4: D1050007 20000D6B
	v_exp_f32_e32 v4, v4                                       // 00000000BFDC: 7E084104
	v_exp_f32_e32 v5, v5                                       // 00000000BFE0: 7E0A4105
	v_exp_f32_e32 v6, v6                                       // 00000000BFE4: 7E0C4106
	v_exp_f32_e32 v7, v7                                       // 00000000BFE8: 7E0E4107
	v_add_f32_e64 v4, v4, 1.0                                  // 00000000BFEC: D1010004 0001E504
	v_add_f32_e64 v5, v5, 1.0                                  // 00000000BFF4: D1010005 0001E505
	v_add_f32_e64 v6, v6, 1.0                                  // 00000000BFFC: D1010006 0001E506
	v_add_f32_e64 v7, v7, 1.0                                  // 00000000C004: D1010007 0001E507
	v_rcp_f32_e32 v4, v4                                       // 00000000C00C: 7E084504
	v_rcp_f32_e32 v5, v5                                       // 00000000C010: 7E0A4505
	v_rcp_f32_e32 v6, v6                                       // 00000000C014: 7E0C4506
	v_rcp_f32_e32 v7, v7                                       // 00000000C018: 7E0E4507
	v_mul_f32_e32 v104, v104, v4                               // 00000000C01C: 0AD00968
	v_mul_f32_e32 v105, v105, v5                               // 00000000C020: 0AD20B69
	v_mul_f32_e32 v106, v106, v6                               // 00000000C024: 0AD40D6A
	v_mul_f32_e32 v107, v107, v7                               // 00000000C028: 0AD60F6B
	v_mul_f32_e32 v104, v104, v176                             // 00000000C02C: 0AD16168
	v_mul_f32_e32 v105, v105, v177                             // 00000000C030: 0AD36369
	v_mul_f32_e32 v106, v106, v178                             // 00000000C034: 0AD5656A
	v_mul_f32_e32 v107, v107, v179                             // 00000000C038: 0AD7676B
	v_mul_f32_e64 v4, -v108, s6                                // 00000000C03C: D1050004 20000D6C
	v_mul_f32_e64 v5, -v109, s6                                // 00000000C044: D1050005 20000D6D
	v_mul_f32_e64 v6, -v110, s6                                // 00000000C04C: D1050006 20000D6E
	v_mul_f32_e64 v7, -v111, s6                                // 00000000C054: D1050007 20000D6F
	v_exp_f32_e32 v4, v4                                       // 00000000C05C: 7E084104
	v_exp_f32_e32 v5, v5                                       // 00000000C060: 7E0A4105
	v_exp_f32_e32 v6, v6                                       // 00000000C064: 7E0C4106
	v_exp_f32_e32 v7, v7                                       // 00000000C068: 7E0E4107
	v_add_f32_e64 v4, v4, 1.0                                  // 00000000C06C: D1010004 0001E504
	v_add_f32_e64 v5, v5, 1.0                                  // 00000000C074: D1010005 0001E505
	v_add_f32_e64 v6, v6, 1.0                                  // 00000000C07C: D1010006 0001E506
	v_add_f32_e64 v7, v7, 1.0                                  // 00000000C084: D1010007 0001E507
	v_rcp_f32_e32 v4, v4                                       // 00000000C08C: 7E084504
	v_rcp_f32_e32 v5, v5                                       // 00000000C090: 7E0A4505
	v_rcp_f32_e32 v6, v6                                       // 00000000C094: 7E0C4506
	v_rcp_f32_e32 v7, v7                                       // 00000000C098: 7E0E4507
	v_mul_f32_e32 v108, v108, v4                               // 00000000C09C: 0AD8096C
	v_mul_f32_e32 v109, v109, v5                               // 00000000C0A0: 0ADA0B6D
	v_mul_f32_e32 v110, v110, v6                               // 00000000C0A4: 0ADC0D6E
	v_mul_f32_e32 v111, v111, v7                               // 00000000C0A8: 0ADE0F6F
	v_mul_f32_e32 v108, v108, v180                             // 00000000C0AC: 0AD9696C
	v_mul_f32_e32 v109, v109, v181                             // 00000000C0B0: 0ADB6B6D
	v_mul_f32_e32 v110, v110, v182                             // 00000000C0B4: 0ADD6D6E
	v_mul_f32_e32 v111, v111, v183                             // 00000000C0B8: 0ADF6F6F
	v_mul_f32_e64 v4, -v112, s6                                // 00000000C0BC: D1050004 20000D70
	v_mul_f32_e64 v5, -v113, s6                                // 00000000C0C4: D1050005 20000D71
	v_mul_f32_e64 v6, -v114, s6                                // 00000000C0CC: D1050006 20000D72
	v_mul_f32_e64 v7, -v115, s6                                // 00000000C0D4: D1050007 20000D73
	v_exp_f32_e32 v4, v4                                       // 00000000C0DC: 7E084104
	v_exp_f32_e32 v5, v5                                       // 00000000C0E0: 7E0A4105
	v_exp_f32_e32 v6, v6                                       // 00000000C0E4: 7E0C4106
	v_exp_f32_e32 v7, v7                                       // 00000000C0E8: 7E0E4107
	v_add_f32_e64 v4, v4, 1.0                                  // 00000000C0EC: D1010004 0001E504
	v_add_f32_e64 v5, v5, 1.0                                  // 00000000C0F4: D1010005 0001E505
	v_add_f32_e64 v6, v6, 1.0                                  // 00000000C0FC: D1010006 0001E506
	v_add_f32_e64 v7, v7, 1.0                                  // 00000000C104: D1010007 0001E507
	v_rcp_f32_e32 v4, v4                                       // 00000000C10C: 7E084504
	v_rcp_f32_e32 v5, v5                                       // 00000000C110: 7E0A4505
	v_rcp_f32_e32 v6, v6                                       // 00000000C114: 7E0C4506
	v_rcp_f32_e32 v7, v7                                       // 00000000C118: 7E0E4507
	v_mul_f32_e32 v112, v112, v4                               // 00000000C11C: 0AE00970
	v_mul_f32_e32 v113, v113, v5                               // 00000000C120: 0AE20B71
	v_mul_f32_e32 v114, v114, v6                               // 00000000C124: 0AE40D72
	v_mul_f32_e32 v115, v115, v7                               // 00000000C128: 0AE60F73
	v_mul_f32_e32 v112, v112, v184                             // 00000000C12C: 0AE17170
	v_mul_f32_e32 v113, v113, v185                             // 00000000C130: 0AE37371
	v_mul_f32_e32 v114, v114, v186                             // 00000000C134: 0AE57572
	v_mul_f32_e32 v115, v115, v187                             // 00000000C138: 0AE77773
	v_mul_f32_e64 v4, -v116, s6                                // 00000000C13C: D1050004 20000D74
	v_mul_f32_e64 v5, -v117, s6                                // 00000000C144: D1050005 20000D75
	v_mul_f32_e64 v6, -v118, s6                                // 00000000C14C: D1050006 20000D76
	v_mul_f32_e64 v7, -v119, s6                                // 00000000C154: D1050007 20000D77
	v_exp_f32_e32 v4, v4                                       // 00000000C15C: 7E084104
	v_exp_f32_e32 v5, v5                                       // 00000000C160: 7E0A4105
	v_exp_f32_e32 v6, v6                                       // 00000000C164: 7E0C4106
	v_exp_f32_e32 v7, v7                                       // 00000000C168: 7E0E4107
	v_add_f32_e64 v4, v4, 1.0                                  // 00000000C16C: D1010004 0001E504
	v_add_f32_e64 v5, v5, 1.0                                  // 00000000C174: D1010005 0001E505
	v_add_f32_e64 v6, v6, 1.0                                  // 00000000C17C: D1010006 0001E506
	v_add_f32_e64 v7, v7, 1.0                                  // 00000000C184: D1010007 0001E507
	v_rcp_f32_e32 v4, v4                                       // 00000000C18C: 7E084504
	v_rcp_f32_e32 v5, v5                                       // 00000000C190: 7E0A4505
	v_rcp_f32_e32 v6, v6                                       // 00000000C194: 7E0C4506
	v_rcp_f32_e32 v7, v7                                       // 00000000C198: 7E0E4507
	v_mul_f32_e32 v116, v116, v4                               // 00000000C19C: 0AE80974
	v_mul_f32_e32 v117, v117, v5                               // 00000000C1A0: 0AEA0B75
	v_mul_f32_e32 v118, v118, v6                               // 00000000C1A4: 0AEC0D76
	v_mul_f32_e32 v119, v119, v7                               // 00000000C1A8: 0AEE0F77
	v_mul_f32_e32 v116, v116, v188                             // 00000000C1AC: 0AE97974
	v_mul_f32_e32 v117, v117, v189                             // 00000000C1B0: 0AEB7B75
	v_mul_f32_e32 v118, v118, v190                             // 00000000C1B4: 0AED7D76
	v_mul_f32_e32 v119, v119, v191                             // 00000000C1B8: 0AEF7F77
	v_mul_f32_e64 v4, -v120, s6                                // 00000000C1BC: D1050004 20000D78
	v_mul_f32_e64 v5, -v121, s6                                // 00000000C1C4: D1050005 20000D79
	v_mul_f32_e64 v6, -v122, s6                                // 00000000C1CC: D1050006 20000D7A
	v_mul_f32_e64 v7, -v123, s6                                // 00000000C1D4: D1050007 20000D7B
	v_exp_f32_e32 v4, v4                                       // 00000000C1DC: 7E084104
	v_exp_f32_e32 v5, v5                                       // 00000000C1E0: 7E0A4105
	v_exp_f32_e32 v6, v6                                       // 00000000C1E4: 7E0C4106
	v_exp_f32_e32 v7, v7                                       // 00000000C1E8: 7E0E4107
	v_add_f32_e64 v4, v4, 1.0                                  // 00000000C1EC: D1010004 0001E504
	v_add_f32_e64 v5, v5, 1.0                                  // 00000000C1F4: D1010005 0001E505
	v_add_f32_e64 v6, v6, 1.0                                  // 00000000C1FC: D1010006 0001E506
	v_add_f32_e64 v7, v7, 1.0                                  // 00000000C204: D1010007 0001E507
	v_rcp_f32_e32 v4, v4                                       // 00000000C20C: 7E084504
	v_rcp_f32_e32 v5, v5                                       // 00000000C210: 7E0A4505
	v_rcp_f32_e32 v6, v6                                       // 00000000C214: 7E0C4506
	v_rcp_f32_e32 v7, v7                                       // 00000000C218: 7E0E4507
	v_mul_f32_e32 v120, v120, v4                               // 00000000C21C: 0AF00978
	v_mul_f32_e32 v121, v121, v5                               // 00000000C220: 0AF20B79
	v_mul_f32_e32 v122, v122, v6                               // 00000000C224: 0AF40D7A
	v_mul_f32_e32 v123, v123, v7                               // 00000000C228: 0AF60F7B
	v_mul_f32_e32 v120, v120, v192                             // 00000000C22C: 0AF18178
	v_mul_f32_e32 v121, v121, v193                             // 00000000C230: 0AF38379
	v_mul_f32_e32 v122, v122, v194                             // 00000000C234: 0AF5857A
	v_mul_f32_e32 v123, v123, v195                             // 00000000C238: 0AF7877B
	v_mul_f32_e64 v4, -v124, s6                                // 00000000C23C: D1050004 20000D7C
	v_mul_f32_e64 v5, -v125, s6                                // 00000000C244: D1050005 20000D7D
	v_mul_f32_e64 v6, -v126, s6                                // 00000000C24C: D1050006 20000D7E
	v_mul_f32_e64 v7, -v127, s6                                // 00000000C254: D1050007 20000D7F
	v_exp_f32_e32 v4, v4                                       // 00000000C25C: 7E084104
	v_exp_f32_e32 v5, v5                                       // 00000000C260: 7E0A4105
	v_exp_f32_e32 v6, v6                                       // 00000000C264: 7E0C4106
	v_exp_f32_e32 v7, v7                                       // 00000000C268: 7E0E4107
	v_add_f32_e64 v4, v4, 1.0                                  // 00000000C26C: D1010004 0001E504
	v_add_f32_e64 v5, v5, 1.0                                  // 00000000C274: D1010005 0001E505
	v_add_f32_e64 v6, v6, 1.0                                  // 00000000C27C: D1010006 0001E506
	v_add_f32_e64 v7, v7, 1.0                                  // 00000000C284: D1010007 0001E507
	v_rcp_f32_e32 v4, v4                                       // 00000000C28C: 7E084504
	v_rcp_f32_e32 v5, v5                                       // 00000000C290: 7E0A4505
	v_rcp_f32_e32 v6, v6                                       // 00000000C294: 7E0C4506
	v_rcp_f32_e32 v7, v7                                       // 00000000C298: 7E0E4507
	v_mul_f32_e32 v124, v124, v4                               // 00000000C29C: 0AF8097C
	v_mul_f32_e32 v125, v125, v5                               // 00000000C2A0: 0AFA0B7D
	v_mul_f32_e32 v126, v126, v6                               // 00000000C2A4: 0AFC0D7E
	v_mul_f32_e32 v127, v127, v7                               // 00000000C2A8: 0AFE0F7F
	v_mul_f32_e32 v124, v124, v196                             // 00000000C2AC: 0AF9897C
	v_mul_f32_e32 v125, v125, v197                             // 00000000C2B0: 0AFB8B7D
	v_mul_f32_e32 v126, v126, v198                             // 00000000C2B4: 0AFD8D7E
	v_mul_f32_e32 v127, v127, v199                             // 00000000C2B8: 0AFF8F7F
	v_mul_f32_e64 v4, -v128, s6                                // 00000000C2BC: D1050004 20000D80
	v_mul_f32_e64 v5, -v129, s6                                // 00000000C2C4: D1050005 20000D81
	v_mul_f32_e64 v6, -v130, s6                                // 00000000C2CC: D1050006 20000D82
	v_mul_f32_e64 v7, -v131, s6                                // 00000000C2D4: D1050007 20000D83
	v_exp_f32_e32 v4, v4                                       // 00000000C2DC: 7E084104
	v_exp_f32_e32 v5, v5                                       // 00000000C2E0: 7E0A4105
	v_exp_f32_e32 v6, v6                                       // 00000000C2E4: 7E0C4106
	v_exp_f32_e32 v7, v7                                       // 00000000C2E8: 7E0E4107
	v_add_f32_e64 v4, v4, 1.0                                  // 00000000C2EC: D1010004 0001E504
	v_add_f32_e64 v5, v5, 1.0                                  // 00000000C2F4: D1010005 0001E505
	v_add_f32_e64 v6, v6, 1.0                                  // 00000000C2FC: D1010006 0001E506
	v_add_f32_e64 v7, v7, 1.0                                  // 00000000C304: D1010007 0001E507
	v_rcp_f32_e32 v4, v4                                       // 00000000C30C: 7E084504
	v_rcp_f32_e32 v5, v5                                       // 00000000C310: 7E0A4505
	v_rcp_f32_e32 v6, v6                                       // 00000000C314: 7E0C4506
	v_rcp_f32_e32 v7, v7                                       // 00000000C318: 7E0E4507
	v_mul_f32_e32 v128, v128, v4                               // 00000000C31C: 0B000980
	v_mul_f32_e32 v129, v129, v5                               // 00000000C320: 0B020B81
	v_mul_f32_e32 v130, v130, v6                               // 00000000C324: 0B040D82
	v_mul_f32_e32 v131, v131, v7                               // 00000000C328: 0B060F83
	v_mul_f32_e32 v128, v128, v200                             // 00000000C32C: 0B019180
	v_mul_f32_e32 v129, v129, v201                             // 00000000C330: 0B039381
	v_mul_f32_e32 v130, v130, v202                             // 00000000C334: 0B059582
	v_mul_f32_e32 v131, v131, v203                             // 00000000C338: 0B079783
	v_mul_f32_e64 v4, -v132, s6                                // 00000000C33C: D1050004 20000D84
	v_mul_f32_e64 v5, -v133, s6                                // 00000000C344: D1050005 20000D85
	v_mul_f32_e64 v6, -v134, s6                                // 00000000C34C: D1050006 20000D86
	v_mul_f32_e64 v7, -v135, s6                                // 00000000C354: D1050007 20000D87
	v_exp_f32_e32 v4, v4                                       // 00000000C35C: 7E084104
	v_exp_f32_e32 v5, v5                                       // 00000000C360: 7E0A4105
	v_exp_f32_e32 v6, v6                                       // 00000000C364: 7E0C4106
	v_exp_f32_e32 v7, v7                                       // 00000000C368: 7E0E4107
	v_add_f32_e64 v4, v4, 1.0                                  // 00000000C36C: D1010004 0001E504
	v_add_f32_e64 v5, v5, 1.0                                  // 00000000C374: D1010005 0001E505
	v_add_f32_e64 v6, v6, 1.0                                  // 00000000C37C: D1010006 0001E506
	v_add_f32_e64 v7, v7, 1.0                                  // 00000000C384: D1010007 0001E507
	v_rcp_f32_e32 v4, v4                                       // 00000000C38C: 7E084504
	v_rcp_f32_e32 v5, v5                                       // 00000000C390: 7E0A4505
	v_rcp_f32_e32 v6, v6                                       // 00000000C394: 7E0C4506
	v_rcp_f32_e32 v7, v7                                       // 00000000C398: 7E0E4507
	v_mul_f32_e32 v132, v132, v4                               // 00000000C39C: 0B080984
	v_mul_f32_e32 v133, v133, v5                               // 00000000C3A0: 0B0A0B85
	v_mul_f32_e32 v134, v134, v6                               // 00000000C3A4: 0B0C0D86
	v_mul_f32_e32 v135, v135, v7                               // 00000000C3A8: 0B0E0F87
	v_mul_f32_e32 v132, v132, v204                             // 00000000C3AC: 0B099984
	v_mul_f32_e32 v133, v133, v205                             // 00000000C3B0: 0B0B9B85
	v_mul_f32_e32 v134, v134, v206                             // 00000000C3B4: 0B0D9D86
	v_mul_f32_e32 v135, v135, v207                             // 00000000C3B8: 0B0F9F87
	v_mul_f32_e64 v4, -v136, s6                                // 00000000C3BC: D1050004 20000D88
	v_mul_f32_e64 v5, -v137, s6                                // 00000000C3C4: D1050005 20000D89
	v_mul_f32_e64 v6, -v138, s6                                // 00000000C3CC: D1050006 20000D8A
	v_mul_f32_e64 v7, -v139, s6                                // 00000000C3D4: D1050007 20000D8B
	v_exp_f32_e32 v4, v4                                       // 00000000C3DC: 7E084104
	v_exp_f32_e32 v5, v5                                       // 00000000C3E0: 7E0A4105
	v_exp_f32_e32 v6, v6                                       // 00000000C3E4: 7E0C4106
	v_exp_f32_e32 v7, v7                                       // 00000000C3E8: 7E0E4107
	v_add_f32_e64 v4, v4, 1.0                                  // 00000000C3EC: D1010004 0001E504
	v_add_f32_e64 v5, v5, 1.0                                  // 00000000C3F4: D1010005 0001E505
	v_add_f32_e64 v6, v6, 1.0                                  // 00000000C3FC: D1010006 0001E506
	v_add_f32_e64 v7, v7, 1.0                                  // 00000000C404: D1010007 0001E507
	v_rcp_f32_e32 v4, v4                                       // 00000000C40C: 7E084504
	v_rcp_f32_e32 v5, v5                                       // 00000000C410: 7E0A4505
	v_rcp_f32_e32 v6, v6                                       // 00000000C414: 7E0C4506
	v_rcp_f32_e32 v7, v7                                       // 00000000C418: 7E0E4507
	v_mul_f32_e32 v136, v136, v4                               // 00000000C41C: 0B100988
	v_mul_f32_e32 v137, v137, v5                               // 00000000C420: 0B120B89
	v_mul_f32_e32 v138, v138, v6                               // 00000000C424: 0B140D8A
	v_mul_f32_e32 v139, v139, v7                               // 00000000C428: 0B160F8B
	v_mul_f32_e32 v136, v136, v208                             // 00000000C42C: 0B11A188
	v_mul_f32_e32 v137, v137, v209                             // 00000000C430: 0B13A389
	v_mul_f32_e32 v138, v138, v210                             // 00000000C434: 0B15A58A
	v_mul_f32_e32 v139, v139, v211                             // 00000000C438: 0B17A78B
	v_mul_f32_e64 v4, -v140, s6                                // 00000000C43C: D1050004 20000D8C
	v_mul_f32_e64 v5, -v141, s6                                // 00000000C444: D1050005 20000D8D
	v_mul_f32_e64 v6, -v142, s6                                // 00000000C44C: D1050006 20000D8E
	v_mul_f32_e64 v7, -v143, s6                                // 00000000C454: D1050007 20000D8F
	v_exp_f32_e32 v4, v4                                       // 00000000C45C: 7E084104
	v_exp_f32_e32 v5, v5                                       // 00000000C460: 7E0A4105
	v_exp_f32_e32 v6, v6                                       // 00000000C464: 7E0C4106
	v_exp_f32_e32 v7, v7                                       // 00000000C468: 7E0E4107
	v_add_f32_e64 v4, v4, 1.0                                  // 00000000C46C: D1010004 0001E504
	v_add_f32_e64 v5, v5, 1.0                                  // 00000000C474: D1010005 0001E505
	v_add_f32_e64 v6, v6, 1.0                                  // 00000000C47C: D1010006 0001E506
	v_add_f32_e64 v7, v7, 1.0                                  // 00000000C484: D1010007 0001E507
	v_rcp_f32_e32 v4, v4                                       // 00000000C48C: 7E084504
	v_rcp_f32_e32 v5, v5                                       // 00000000C490: 7E0A4505
	v_rcp_f32_e32 v6, v6                                       // 00000000C494: 7E0C4506
	v_rcp_f32_e32 v7, v7                                       // 00000000C498: 7E0E4507
	v_mul_f32_e32 v140, v140, v4                               // 00000000C49C: 0B18098C
	v_mul_f32_e32 v141, v141, v5                               // 00000000C4A0: 0B1A0B8D
	v_mul_f32_e32 v142, v142, v6                               // 00000000C4A4: 0B1C0D8E
	v_mul_f32_e32 v143, v143, v7                               // 00000000C4A8: 0B1E0F8F
	v_mul_f32_e32 v140, v140, v212                             // 00000000C4AC: 0B19A98C
	v_mul_f32_e32 v141, v141, v213                             // 00000000C4B0: 0B1BAB8D
	v_mul_f32_e32 v142, v142, v214                             // 00000000C4B4: 0B1DAD8E
	v_mul_f32_e32 v143, v143, v215                             // 00000000C4B8: 0B1FAF8F
	v_mul_f32_e64 v4, -v144, s6                                // 00000000C4BC: D1050004 20000D90
	v_mul_f32_e64 v5, -v145, s6                                // 00000000C4C4: D1050005 20000D91
	v_mul_f32_e64 v6, -v146, s6                                // 00000000C4CC: D1050006 20000D92
	v_mul_f32_e64 v7, -v147, s6                                // 00000000C4D4: D1050007 20000D93
	v_exp_f32_e32 v4, v4                                       // 00000000C4DC: 7E084104
	v_exp_f32_e32 v5, v5                                       // 00000000C4E0: 7E0A4105
	v_exp_f32_e32 v6, v6                                       // 00000000C4E4: 7E0C4106
	v_exp_f32_e32 v7, v7                                       // 00000000C4E8: 7E0E4107
	v_add_f32_e64 v4, v4, 1.0                                  // 00000000C4EC: D1010004 0001E504
	v_add_f32_e64 v5, v5, 1.0                                  // 00000000C4F4: D1010005 0001E505
	v_add_f32_e64 v6, v6, 1.0                                  // 00000000C4FC: D1010006 0001E506
	v_add_f32_e64 v7, v7, 1.0                                  // 00000000C504: D1010007 0001E507
	v_rcp_f32_e32 v4, v4                                       // 00000000C50C: 7E084504
	v_rcp_f32_e32 v5, v5                                       // 00000000C510: 7E0A4505
	v_rcp_f32_e32 v6, v6                                       // 00000000C514: 7E0C4506
	v_rcp_f32_e32 v7, v7                                       // 00000000C518: 7E0E4507
	v_mul_f32_e32 v144, v144, v4                               // 00000000C51C: 0B200990
	v_mul_f32_e32 v145, v145, v5                               // 00000000C520: 0B220B91
	v_mul_f32_e32 v146, v146, v6                               // 00000000C524: 0B240D92
	v_mul_f32_e32 v147, v147, v7                               // 00000000C528: 0B260F93
	v_mul_f32_e32 v144, v144, v216                             // 00000000C52C: 0B21B190
	v_mul_f32_e32 v145, v145, v217                             // 00000000C530: 0B23B391
	v_mul_f32_e32 v146, v146, v218                             // 00000000C534: 0B25B592
	v_mul_f32_e32 v147, v147, v219                             // 00000000C538: 0B27B793
	v_mul_f32_e64 v4, -v148, s6                                // 00000000C53C: D1050004 20000D94
	v_mul_f32_e64 v5, -v149, s6                                // 00000000C544: D1050005 20000D95
	v_mul_f32_e64 v6, -v150, s6                                // 00000000C54C: D1050006 20000D96
	v_mul_f32_e64 v7, -v151, s6                                // 00000000C554: D1050007 20000D97
	v_exp_f32_e32 v4, v4                                       // 00000000C55C: 7E084104
	v_exp_f32_e32 v5, v5                                       // 00000000C560: 7E0A4105
	v_exp_f32_e32 v6, v6                                       // 00000000C564: 7E0C4106
	v_exp_f32_e32 v7, v7                                       // 00000000C568: 7E0E4107
	v_add_f32_e64 v4, v4, 1.0                                  // 00000000C56C: D1010004 0001E504
	v_add_f32_e64 v5, v5, 1.0                                  // 00000000C574: D1010005 0001E505
	v_add_f32_e64 v6, v6, 1.0                                  // 00000000C57C: D1010006 0001E506
	v_add_f32_e64 v7, v7, 1.0                                  // 00000000C584: D1010007 0001E507
	v_rcp_f32_e32 v4, v4                                       // 00000000C58C: 7E084504
	v_rcp_f32_e32 v5, v5                                       // 00000000C590: 7E0A4505
	v_rcp_f32_e32 v6, v6                                       // 00000000C594: 7E0C4506
	v_rcp_f32_e32 v7, v7                                       // 00000000C598: 7E0E4507
	v_mul_f32_e32 v148, v148, v4                               // 00000000C59C: 0B280994
	v_mul_f32_e32 v149, v149, v5                               // 00000000C5A0: 0B2A0B95
	v_mul_f32_e32 v150, v150, v6                               // 00000000C5A4: 0B2C0D96
	v_mul_f32_e32 v151, v151, v7                               // 00000000C5A8: 0B2E0F97
	v_mul_f32_e32 v148, v148, v220                             // 00000000C5AC: 0B29B994
	v_mul_f32_e32 v149, v149, v221                             // 00000000C5B0: 0B2BBB95
	v_mul_f32_e32 v150, v150, v222                             // 00000000C5B4: 0B2DBD96
	v_mul_f32_e32 v151, v151, v223                             // 00000000C5B8: 0B2FBF97
	v_mul_f32_e64 v4, -v152, s6                                // 00000000C5BC: D1050004 20000D98
	v_mul_f32_e64 v5, -v153, s6                                // 00000000C5C4: D1050005 20000D99
	v_mul_f32_e64 v6, -v154, s6                                // 00000000C5CC: D1050006 20000D9A
	v_mul_f32_e64 v7, -v155, s6                                // 00000000C5D4: D1050007 20000D9B
	v_exp_f32_e32 v4, v4                                       // 00000000C5DC: 7E084104
	v_exp_f32_e32 v5, v5                                       // 00000000C5E0: 7E0A4105
	v_exp_f32_e32 v6, v6                                       // 00000000C5E4: 7E0C4106
	v_exp_f32_e32 v7, v7                                       // 00000000C5E8: 7E0E4107
	v_add_f32_e64 v4, v4, 1.0                                  // 00000000C5EC: D1010004 0001E504
	v_add_f32_e64 v5, v5, 1.0                                  // 00000000C5F4: D1010005 0001E505
	v_add_f32_e64 v6, v6, 1.0                                  // 00000000C5FC: D1010006 0001E506
	v_add_f32_e64 v7, v7, 1.0                                  // 00000000C604: D1010007 0001E507
	v_rcp_f32_e32 v4, v4                                       // 00000000C60C: 7E084504
	v_rcp_f32_e32 v5, v5                                       // 00000000C610: 7E0A4505
	v_rcp_f32_e32 v6, v6                                       // 00000000C614: 7E0C4506
	v_rcp_f32_e32 v7, v7                                       // 00000000C618: 7E0E4507
	v_mul_f32_e32 v152, v152, v4                               // 00000000C61C: 0B300998
	v_mul_f32_e32 v153, v153, v5                               // 00000000C620: 0B320B99
	v_mul_f32_e32 v154, v154, v6                               // 00000000C624: 0B340D9A
	v_mul_f32_e32 v155, v155, v7                               // 00000000C628: 0B360F9B
	v_mul_f32_e32 v152, v152, v224                             // 00000000C62C: 0B31C198
	v_mul_f32_e32 v153, v153, v225                             // 00000000C630: 0B33C399
	v_mul_f32_e32 v154, v154, v226                             // 00000000C634: 0B35C59A
	v_mul_f32_e32 v155, v155, v227                             // 00000000C638: 0B37C79B

000000000000c63c <label_2712>:
	v_cmp_u_f32_e64 s[46:47], v84, v84                         // 00000000C63C: D048002E 0002A954
	v_add3_u32 v16, v84, v19, 1                                // 00000000C644: D1FF0010 02062754
	v_cndmask_b32_e64 v4, v16, v18, s[46:47]                   // 00000000C64C: D1000004 00BA2510
	v_cmp_u_f32_e64 s[46:47], v85, v85                         // 00000000C654: D048002E 0002AB55
	v_add3_u32 v16, v85, v19, 1                                // 00000000C65C: D1FF0010 02062755
	v_cndmask_b32_e64 v5, v16, v18, s[46:47]                   // 00000000C664: D1000005 00BA2510
	v_perm_b32 v84, v5, v4, s52                                // 00000000C66C: D1ED0054 00D20905
	v_cmp_u_f32_e64 s[46:47], v86, v86                         // 00000000C674: D048002E 0002AD56
	v_add3_u32 v16, v86, v19, 1                                // 00000000C67C: D1FF0010 02062756
	v_cndmask_b32_e64 v4, v16, v18, s[46:47]                   // 00000000C684: D1000004 00BA2510
	v_cmp_u_f32_e64 s[46:47], v87, v87                         // 00000000C68C: D048002E 0002AF57
	v_add3_u32 v16, v87, v19, 1                                // 00000000C694: D1FF0010 02062757
	v_cndmask_b32_e64 v5, v16, v18, s[46:47]                   // 00000000C69C: D1000005 00BA2510
	v_perm_b32 v85, v5, v4, s52                                // 00000000C6A4: D1ED0055 00D20905
	v_cmp_u_f32_e64 s[46:47], v88, v88                         // 00000000C6AC: D048002E 0002B158
	v_add3_u32 v16, v88, v19, 1                                // 00000000C6B4: D1FF0010 02062758
	v_cndmask_b32_e64 v4, v16, v18, s[46:47]                   // 00000000C6BC: D1000004 00BA2510
	v_cmp_u_f32_e64 s[46:47], v89, v89                         // 00000000C6C4: D048002E 0002B359
	v_add3_u32 v16, v89, v19, 1                                // 00000000C6CC: D1FF0010 02062759
	v_cndmask_b32_e64 v5, v16, v18, s[46:47]                   // 00000000C6D4: D1000005 00BA2510
	v_perm_b32 v86, v5, v4, s52                                // 00000000C6DC: D1ED0056 00D20905
	v_cmp_u_f32_e64 s[46:47], v90, v90                         // 00000000C6E4: D048002E 0002B55A
	v_add3_u32 v16, v90, v19, 1                                // 00000000C6EC: D1FF0010 0206275A
	v_cndmask_b32_e64 v4, v16, v18, s[46:47]                   // 00000000C6F4: D1000004 00BA2510
	v_cmp_u_f32_e64 s[46:47], v91, v91                         // 00000000C6FC: D048002E 0002B75B
	v_add3_u32 v16, v91, v19, 1                                // 00000000C704: D1FF0010 0206275B
	v_cndmask_b32_e64 v5, v16, v18, s[46:47]                   // 00000000C70C: D1000005 00BA2510
	v_perm_b32 v87, v5, v4, s52                                // 00000000C714: D1ED0057 00D20905
	v_cmp_u_f32_e64 s[46:47], v92, v92                         // 00000000C71C: D048002E 0002B95C
	v_add3_u32 v16, v92, v19, 1                                // 00000000C724: D1FF0010 0206275C
	v_cndmask_b32_e64 v4, v16, v18, s[46:47]                   // 00000000C72C: D1000004 00BA2510
	v_cmp_u_f32_e64 s[46:47], v93, v93                         // 00000000C734: D048002E 0002BB5D
	v_add3_u32 v16, v93, v19, 1                                // 00000000C73C: D1FF0010 0206275D
	v_cndmask_b32_e64 v5, v16, v18, s[46:47]                   // 00000000C744: D1000005 00BA2510
	v_perm_b32 v88, v5, v4, s52                                // 00000000C74C: D1ED0058 00D20905
	v_cmp_u_f32_e64 s[46:47], v94, v94                         // 00000000C754: D048002E 0002BD5E
	v_add3_u32 v16, v94, v19, 1                                // 00000000C75C: D1FF0010 0206275E
	v_cndmask_b32_e64 v4, v16, v18, s[46:47]                   // 00000000C764: D1000004 00BA2510
	v_cmp_u_f32_e64 s[46:47], v95, v95                         // 00000000C76C: D048002E 0002BF5F
	v_add3_u32 v16, v95, v19, 1                                // 00000000C774: D1FF0010 0206275F
	v_cndmask_b32_e64 v5, v16, v18, s[46:47]                   // 00000000C77C: D1000005 00BA2510
	v_perm_b32 v89, v5, v4, s52                                // 00000000C784: D1ED0059 00D20905
	v_cmp_u_f32_e64 s[46:47], v96, v96                         // 00000000C78C: D048002E 0002C160
	v_add3_u32 v16, v96, v19, 1                                // 00000000C794: D1FF0010 02062760
	v_cndmask_b32_e64 v4, v16, v18, s[46:47]                   // 00000000C79C: D1000004 00BA2510
	v_cmp_u_f32_e64 s[46:47], v97, v97                         // 00000000C7A4: D048002E 0002C361
	v_add3_u32 v16, v97, v19, 1                                // 00000000C7AC: D1FF0010 02062761
	v_cndmask_b32_e64 v5, v16, v18, s[46:47]                   // 00000000C7B4: D1000005 00BA2510
	v_perm_b32 v90, v5, v4, s52                                // 00000000C7BC: D1ED005A 00D20905
	v_cmp_u_f32_e64 s[46:47], v98, v98                         // 00000000C7C4: D048002E 0002C562
	v_add3_u32 v16, v98, v19, 1                                // 00000000C7CC: D1FF0010 02062762
	v_cndmask_b32_e64 v4, v16, v18, s[46:47]                   // 00000000C7D4: D1000004 00BA2510
	v_cmp_u_f32_e64 s[46:47], v99, v99                         // 00000000C7DC: D048002E 0002C763
	v_add3_u32 v16, v99, v19, 1                                // 00000000C7E4: D1FF0010 02062763
	v_cndmask_b32_e64 v5, v16, v18, s[46:47]                   // 00000000C7EC: D1000005 00BA2510
	v_perm_b32 v91, v5, v4, s52                                // 00000000C7F4: D1ED005B 00D20905
	v_cmp_u_f32_e64 s[46:47], v100, v100                       // 00000000C7FC: D048002E 0002C964
	v_add3_u32 v16, v100, v19, 1                               // 00000000C804: D1FF0010 02062764
	v_cndmask_b32_e64 v4, v16, v18, s[46:47]                   // 00000000C80C: D1000004 00BA2510
	v_cmp_u_f32_e64 s[46:47], v101, v101                       // 00000000C814: D048002E 0002CB65
	v_add3_u32 v16, v101, v19, 1                               // 00000000C81C: D1FF0010 02062765
	v_cndmask_b32_e64 v5, v16, v18, s[46:47]                   // 00000000C824: D1000005 00BA2510
	v_perm_b32 v92, v5, v4, s52                                // 00000000C82C: D1ED005C 00D20905
	v_cmp_u_f32_e64 s[46:47], v102, v102                       // 00000000C834: D048002E 0002CD66
	v_add3_u32 v16, v102, v19, 1                               // 00000000C83C: D1FF0010 02062766
	v_cndmask_b32_e64 v4, v16, v18, s[46:47]                   // 00000000C844: D1000004 00BA2510
	v_cmp_u_f32_e64 s[46:47], v103, v103                       // 00000000C84C: D048002E 0002CF67
	v_add3_u32 v16, v103, v19, 1                               // 00000000C854: D1FF0010 02062767
	v_cndmask_b32_e64 v5, v16, v18, s[46:47]                   // 00000000C85C: D1000005 00BA2510
	v_perm_b32 v93, v5, v4, s52                                // 00000000C864: D1ED005D 00D20905
	v_cmp_u_f32_e64 s[46:47], v104, v104                       // 00000000C86C: D048002E 0002D168
	v_add3_u32 v16, v104, v19, 1                               // 00000000C874: D1FF0010 02062768
	v_cndmask_b32_e64 v4, v16, v18, s[46:47]                   // 00000000C87C: D1000004 00BA2510
	v_cmp_u_f32_e64 s[46:47], v105, v105                       // 00000000C884: D048002E 0002D369
	v_add3_u32 v16, v105, v19, 1                               // 00000000C88C: D1FF0010 02062769
	v_cndmask_b32_e64 v5, v16, v18, s[46:47]                   // 00000000C894: D1000005 00BA2510
	v_perm_b32 v94, v5, v4, s52                                // 00000000C89C: D1ED005E 00D20905
	v_cmp_u_f32_e64 s[46:47], v106, v106                       // 00000000C8A4: D048002E 0002D56A
	v_add3_u32 v16, v106, v19, 1                               // 00000000C8AC: D1FF0010 0206276A
	v_cndmask_b32_e64 v4, v16, v18, s[46:47]                   // 00000000C8B4: D1000004 00BA2510
	v_cmp_u_f32_e64 s[46:47], v107, v107                       // 00000000C8BC: D048002E 0002D76B
	v_add3_u32 v16, v107, v19, 1                               // 00000000C8C4: D1FF0010 0206276B
	v_cndmask_b32_e64 v5, v16, v18, s[46:47]                   // 00000000C8CC: D1000005 00BA2510
	v_perm_b32 v95, v5, v4, s52                                // 00000000C8D4: D1ED005F 00D20905
	v_cmp_u_f32_e64 s[46:47], v108, v108                       // 00000000C8DC: D048002E 0002D96C
	v_add3_u32 v16, v108, v19, 1                               // 00000000C8E4: D1FF0010 0206276C
	v_cndmask_b32_e64 v4, v16, v18, s[46:47]                   // 00000000C8EC: D1000004 00BA2510
	v_cmp_u_f32_e64 s[46:47], v109, v109                       // 00000000C8F4: D048002E 0002DB6D
	v_add3_u32 v16, v109, v19, 1                               // 00000000C8FC: D1FF0010 0206276D
	v_cndmask_b32_e64 v5, v16, v18, s[46:47]                   // 00000000C904: D1000005 00BA2510
	v_perm_b32 v96, v5, v4, s52                                // 00000000C90C: D1ED0060 00D20905
	v_cmp_u_f32_e64 s[46:47], v110, v110                       // 00000000C914: D048002E 0002DD6E
	v_add3_u32 v16, v110, v19, 1                               // 00000000C91C: D1FF0010 0206276E
	v_cndmask_b32_e64 v4, v16, v18, s[46:47]                   // 00000000C924: D1000004 00BA2510
	v_cmp_u_f32_e64 s[46:47], v111, v111                       // 00000000C92C: D048002E 0002DF6F
	v_add3_u32 v16, v111, v19, 1                               // 00000000C934: D1FF0010 0206276F
	v_cndmask_b32_e64 v5, v16, v18, s[46:47]                   // 00000000C93C: D1000005 00BA2510
	v_perm_b32 v97, v5, v4, s52                                // 00000000C944: D1ED0061 00D20905
	v_cmp_u_f32_e64 s[46:47], v112, v112                       // 00000000C94C: D048002E 0002E170
	v_add3_u32 v16, v112, v19, 1                               // 00000000C954: D1FF0010 02062770
	v_cndmask_b32_e64 v4, v16, v18, s[46:47]                   // 00000000C95C: D1000004 00BA2510
	v_cmp_u_f32_e64 s[46:47], v113, v113                       // 00000000C964: D048002E 0002E371
	v_add3_u32 v16, v113, v19, 1                               // 00000000C96C: D1FF0010 02062771
	v_cndmask_b32_e64 v5, v16, v18, s[46:47]                   // 00000000C974: D1000005 00BA2510
	v_perm_b32 v98, v5, v4, s52                                // 00000000C97C: D1ED0062 00D20905
	v_cmp_u_f32_e64 s[46:47], v114, v114                       // 00000000C984: D048002E 0002E572
	v_add3_u32 v16, v114, v19, 1                               // 00000000C98C: D1FF0010 02062772
	v_cndmask_b32_e64 v4, v16, v18, s[46:47]                   // 00000000C994: D1000004 00BA2510
	v_cmp_u_f32_e64 s[46:47], v115, v115                       // 00000000C99C: D048002E 0002E773
	v_add3_u32 v16, v115, v19, 1                               // 00000000C9A4: D1FF0010 02062773
	v_cndmask_b32_e64 v5, v16, v18, s[46:47]                   // 00000000C9AC: D1000005 00BA2510
	v_perm_b32 v99, v5, v4, s52                                // 00000000C9B4: D1ED0063 00D20905
	v_cmp_u_f32_e64 s[46:47], v116, v116                       // 00000000C9BC: D048002E 0002E974
	v_add3_u32 v16, v116, v19, 1                               // 00000000C9C4: D1FF0010 02062774
	v_cndmask_b32_e64 v4, v16, v18, s[46:47]                   // 00000000C9CC: D1000004 00BA2510
	v_cmp_u_f32_e64 s[46:47], v117, v117                       // 00000000C9D4: D048002E 0002EB75
	v_add3_u32 v16, v117, v19, 1                               // 00000000C9DC: D1FF0010 02062775
	v_cndmask_b32_e64 v5, v16, v18, s[46:47]                   // 00000000C9E4: D1000005 00BA2510
	v_perm_b32 v100, v5, v4, s52                               // 00000000C9EC: D1ED0064 00D20905
	v_cmp_u_f32_e64 s[46:47], v118, v118                       // 00000000C9F4: D048002E 0002ED76
	v_add3_u32 v16, v118, v19, 1                               // 00000000C9FC: D1FF0010 02062776
	v_cndmask_b32_e64 v4, v16, v18, s[46:47]                   // 00000000CA04: D1000004 00BA2510
	v_cmp_u_f32_e64 s[46:47], v119, v119                       // 00000000CA0C: D048002E 0002EF77
	v_add3_u32 v16, v119, v19, 1                               // 00000000CA14: D1FF0010 02062777
	v_cndmask_b32_e64 v5, v16, v18, s[46:47]                   // 00000000CA1C: D1000005 00BA2510
	v_perm_b32 v101, v5, v4, s52                               // 00000000CA24: D1ED0065 00D20905
	v_cmp_u_f32_e64 s[46:47], v120, v120                       // 00000000CA2C: D048002E 0002F178
	v_add3_u32 v16, v120, v19, 1                               // 00000000CA34: D1FF0010 02062778
	v_cndmask_b32_e64 v4, v16, v18, s[46:47]                   // 00000000CA3C: D1000004 00BA2510
	v_cmp_u_f32_e64 s[46:47], v121, v121                       // 00000000CA44: D048002E 0002F379
	v_add3_u32 v16, v121, v19, 1                               // 00000000CA4C: D1FF0010 02062779
	v_cndmask_b32_e64 v5, v16, v18, s[46:47]                   // 00000000CA54: D1000005 00BA2510
	v_perm_b32 v102, v5, v4, s52                               // 00000000CA5C: D1ED0066 00D20905
	v_cmp_u_f32_e64 s[46:47], v122, v122                       // 00000000CA64: D048002E 0002F57A
	v_add3_u32 v16, v122, v19, 1                               // 00000000CA6C: D1FF0010 0206277A
	v_cndmask_b32_e64 v4, v16, v18, s[46:47]                   // 00000000CA74: D1000004 00BA2510
	v_cmp_u_f32_e64 s[46:47], v123, v123                       // 00000000CA7C: D048002E 0002F77B
	v_add3_u32 v16, v123, v19, 1                               // 00000000CA84: D1FF0010 0206277B
	v_cndmask_b32_e64 v5, v16, v18, s[46:47]                   // 00000000CA8C: D1000005 00BA2510
	v_perm_b32 v103, v5, v4, s52                               // 00000000CA94: D1ED0067 00D20905
	v_cmp_u_f32_e64 s[46:47], v124, v124                       // 00000000CA9C: D048002E 0002F97C
	v_add3_u32 v16, v124, v19, 1                               // 00000000CAA4: D1FF0010 0206277C
	v_cndmask_b32_e64 v4, v16, v18, s[46:47]                   // 00000000CAAC: D1000004 00BA2510
	v_cmp_u_f32_e64 s[46:47], v125, v125                       // 00000000CAB4: D048002E 0002FB7D
	v_add3_u32 v16, v125, v19, 1                               // 00000000CABC: D1FF0010 0206277D
	v_cndmask_b32_e64 v5, v16, v18, s[46:47]                   // 00000000CAC4: D1000005 00BA2510
	v_perm_b32 v104, v5, v4, s52                               // 00000000CACC: D1ED0068 00D20905
	v_cmp_u_f32_e64 s[46:47], v126, v126                       // 00000000CAD4: D048002E 0002FD7E
	v_add3_u32 v16, v126, v19, 1                               // 00000000CADC: D1FF0010 0206277E
	v_cndmask_b32_e64 v4, v16, v18, s[46:47]                   // 00000000CAE4: D1000004 00BA2510
	v_cmp_u_f32_e64 s[46:47], v127, v127                       // 00000000CAEC: D048002E 0002FF7F
	v_add3_u32 v16, v127, v19, 1                               // 00000000CAF4: D1FF0010 0206277F
	v_cndmask_b32_e64 v5, v16, v18, s[46:47]                   // 00000000CAFC: D1000005 00BA2510
	v_perm_b32 v105, v5, v4, s52                               // 00000000CB04: D1ED0069 00D20905
	v_cmp_u_f32_e64 s[46:47], v128, v128                       // 00000000CB0C: D048002E 00030180
	v_add3_u32 v16, v128, v19, 1                               // 00000000CB14: D1FF0010 02062780
	v_cndmask_b32_e64 v4, v16, v18, s[46:47]                   // 00000000CB1C: D1000004 00BA2510
	v_cmp_u_f32_e64 s[46:47], v129, v129                       // 00000000CB24: D048002E 00030381
	v_add3_u32 v16, v129, v19, 1                               // 00000000CB2C: D1FF0010 02062781
	v_cndmask_b32_e64 v5, v16, v18, s[46:47]                   // 00000000CB34: D1000005 00BA2510
	v_perm_b32 v106, v5, v4, s52                               // 00000000CB3C: D1ED006A 00D20905
	v_cmp_u_f32_e64 s[46:47], v130, v130                       // 00000000CB44: D048002E 00030582
	v_add3_u32 v16, v130, v19, 1                               // 00000000CB4C: D1FF0010 02062782
	v_cndmask_b32_e64 v4, v16, v18, s[46:47]                   // 00000000CB54: D1000004 00BA2510
	v_cmp_u_f32_e64 s[46:47], v131, v131                       // 00000000CB5C: D048002E 00030783
	v_add3_u32 v16, v131, v19, 1                               // 00000000CB64: D1FF0010 02062783
	v_cndmask_b32_e64 v5, v16, v18, s[46:47]                   // 00000000CB6C: D1000005 00BA2510
	v_perm_b32 v107, v5, v4, s52                               // 00000000CB74: D1ED006B 00D20905
	v_cmp_u_f32_e64 s[46:47], v132, v132                       // 00000000CB7C: D048002E 00030984
	v_add3_u32 v16, v132, v19, 1                               // 00000000CB84: D1FF0010 02062784
	v_cndmask_b32_e64 v4, v16, v18, s[46:47]                   // 00000000CB8C: D1000004 00BA2510
	v_cmp_u_f32_e64 s[46:47], v133, v133                       // 00000000CB94: D048002E 00030B85
	v_add3_u32 v16, v133, v19, 1                               // 00000000CB9C: D1FF0010 02062785
	v_cndmask_b32_e64 v5, v16, v18, s[46:47]                   // 00000000CBA4: D1000005 00BA2510
	v_perm_b32 v108, v5, v4, s52                               // 00000000CBAC: D1ED006C 00D20905
	v_cmp_u_f32_e64 s[46:47], v134, v134                       // 00000000CBB4: D048002E 00030D86
	v_add3_u32 v16, v134, v19, 1                               // 00000000CBBC: D1FF0010 02062786
	v_cndmask_b32_e64 v4, v16, v18, s[46:47]                   // 00000000CBC4: D1000004 00BA2510
	v_cmp_u_f32_e64 s[46:47], v135, v135                       // 00000000CBCC: D048002E 00030F87
	v_add3_u32 v16, v135, v19, 1                               // 00000000CBD4: D1FF0010 02062787
	v_cndmask_b32_e64 v5, v16, v18, s[46:47]                   // 00000000CBDC: D1000005 00BA2510
	v_perm_b32 v109, v5, v4, s52                               // 00000000CBE4: D1ED006D 00D20905
	v_cmp_u_f32_e64 s[46:47], v136, v136                       // 00000000CBEC: D048002E 00031188
	v_add3_u32 v16, v136, v19, 1                               // 00000000CBF4: D1FF0010 02062788
	v_cndmask_b32_e64 v4, v16, v18, s[46:47]                   // 00000000CBFC: D1000004 00BA2510
	v_cmp_u_f32_e64 s[46:47], v137, v137                       // 00000000CC04: D048002E 00031389
	v_add3_u32 v16, v137, v19, 1                               // 00000000CC0C: D1FF0010 02062789
	v_cndmask_b32_e64 v5, v16, v18, s[46:47]                   // 00000000CC14: D1000005 00BA2510
	v_perm_b32 v110, v5, v4, s52                               // 00000000CC1C: D1ED006E 00D20905
	v_cmp_u_f32_e64 s[46:47], v138, v138                       // 00000000CC24: D048002E 0003158A
	v_add3_u32 v16, v138, v19, 1                               // 00000000CC2C: D1FF0010 0206278A
	v_cndmask_b32_e64 v4, v16, v18, s[46:47]                   // 00000000CC34: D1000004 00BA2510
	v_cmp_u_f32_e64 s[46:47], v139, v139                       // 00000000CC3C: D048002E 0003178B
	v_add3_u32 v16, v139, v19, 1                               // 00000000CC44: D1FF0010 0206278B
	v_cndmask_b32_e64 v5, v16, v18, s[46:47]                   // 00000000CC4C: D1000005 00BA2510
	v_perm_b32 v111, v5, v4, s52                               // 00000000CC54: D1ED006F 00D20905
	v_cmp_u_f32_e64 s[46:47], v140, v140                       // 00000000CC5C: D048002E 0003198C
	v_add3_u32 v16, v140, v19, 1                               // 00000000CC64: D1FF0010 0206278C
	v_cndmask_b32_e64 v4, v16, v18, s[46:47]                   // 00000000CC6C: D1000004 00BA2510
	v_cmp_u_f32_e64 s[46:47], v141, v141                       // 00000000CC74: D048002E 00031B8D
	v_add3_u32 v16, v141, v19, 1                               // 00000000CC7C: D1FF0010 0206278D
	v_cndmask_b32_e64 v5, v16, v18, s[46:47]                   // 00000000CC84: D1000005 00BA2510
	v_perm_b32 v112, v5, v4, s52                               // 00000000CC8C: D1ED0070 00D20905
	v_cmp_u_f32_e64 s[46:47], v142, v142                       // 00000000CC94: D048002E 00031D8E
	v_add3_u32 v16, v142, v19, 1                               // 00000000CC9C: D1FF0010 0206278E
	v_cndmask_b32_e64 v4, v16, v18, s[46:47]                   // 00000000CCA4: D1000004 00BA2510
	v_cmp_u_f32_e64 s[46:47], v143, v143                       // 00000000CCAC: D048002E 00031F8F
	v_add3_u32 v16, v143, v19, 1                               // 00000000CCB4: D1FF0010 0206278F
	v_cndmask_b32_e64 v5, v16, v18, s[46:47]                   // 00000000CCBC: D1000005 00BA2510
	v_perm_b32 v113, v5, v4, s52                               // 00000000CCC4: D1ED0071 00D20905
	v_cmp_u_f32_e64 s[46:47], v144, v144                       // 00000000CCCC: D048002E 00032190
	v_add3_u32 v16, v144, v19, 1                               // 00000000CCD4: D1FF0010 02062790
	v_cndmask_b32_e64 v4, v16, v18, s[46:47]                   // 00000000CCDC: D1000004 00BA2510
	v_cmp_u_f32_e64 s[46:47], v145, v145                       // 00000000CCE4: D048002E 00032391
	v_add3_u32 v16, v145, v19, 1                               // 00000000CCEC: D1FF0010 02062791
	v_cndmask_b32_e64 v5, v16, v18, s[46:47]                   // 00000000CCF4: D1000005 00BA2510
	v_perm_b32 v114, v5, v4, s52                               // 00000000CCFC: D1ED0072 00D20905
	v_cmp_u_f32_e64 s[46:47], v146, v146                       // 00000000CD04: D048002E 00032592
	v_add3_u32 v16, v146, v19, 1                               // 00000000CD0C: D1FF0010 02062792
	v_cndmask_b32_e64 v4, v16, v18, s[46:47]                   // 00000000CD14: D1000004 00BA2510
	v_cmp_u_f32_e64 s[46:47], v147, v147                       // 00000000CD1C: D048002E 00032793
	v_add3_u32 v16, v147, v19, 1                               // 00000000CD24: D1FF0010 02062793
	v_cndmask_b32_e64 v5, v16, v18, s[46:47]                   // 00000000CD2C: D1000005 00BA2510
	v_perm_b32 v115, v5, v4, s52                               // 00000000CD34: D1ED0073 00D20905
	v_cmp_u_f32_e64 s[46:47], v148, v148                       // 00000000CD3C: D048002E 00032994
	v_add3_u32 v16, v148, v19, 1                               // 00000000CD44: D1FF0010 02062794
	v_cndmask_b32_e64 v4, v16, v18, s[46:47]                   // 00000000CD4C: D1000004 00BA2510
	v_cmp_u_f32_e64 s[46:47], v149, v149                       // 00000000CD54: D048002E 00032B95
	v_add3_u32 v16, v149, v19, 1                               // 00000000CD5C: D1FF0010 02062795
	v_cndmask_b32_e64 v5, v16, v18, s[46:47]                   // 00000000CD64: D1000005 00BA2510
	v_perm_b32 v116, v5, v4, s52                               // 00000000CD6C: D1ED0074 00D20905
	v_cmp_u_f32_e64 s[46:47], v150, v150                       // 00000000CD74: D048002E 00032D96
	v_add3_u32 v16, v150, v19, 1                               // 00000000CD7C: D1FF0010 02062796
	v_cndmask_b32_e64 v4, v16, v18, s[46:47]                   // 00000000CD84: D1000004 00BA2510
	v_cmp_u_f32_e64 s[46:47], v151, v151                       // 00000000CD8C: D048002E 00032F97
	v_add3_u32 v16, v151, v19, 1                               // 00000000CD94: D1FF0010 02062797
	v_cndmask_b32_e64 v5, v16, v18, s[46:47]                   // 00000000CD9C: D1000005 00BA2510
	v_perm_b32 v117, v5, v4, s52                               // 00000000CDA4: D1ED0075 00D20905
	v_cmp_u_f32_e64 s[46:47], v152, v152                       // 00000000CDAC: D048002E 00033198
	v_add3_u32 v16, v152, v19, 1                               // 00000000CDB4: D1FF0010 02062798
	v_cndmask_b32_e64 v4, v16, v18, s[46:47]                   // 00000000CDBC: D1000004 00BA2510
	v_cmp_u_f32_e64 s[46:47], v153, v153                       // 00000000CDC4: D048002E 00033399
	v_add3_u32 v16, v153, v19, 1                               // 00000000CDCC: D1FF0010 02062799
	v_cndmask_b32_e64 v5, v16, v18, s[46:47]                   // 00000000CDD4: D1000005 00BA2510
	v_perm_b32 v118, v5, v4, s52                               // 00000000CDDC: D1ED0076 00D20905
	v_cmp_u_f32_e64 s[46:47], v154, v154                       // 00000000CDE4: D048002E 0003359A
	v_add3_u32 v16, v154, v19, 1                               // 00000000CDEC: D1FF0010 0206279A
	v_cndmask_b32_e64 v4, v16, v18, s[46:47]                   // 00000000CDF4: D1000004 00BA2510
	v_cmp_u_f32_e64 s[46:47], v155, v155                       // 00000000CDFC: D048002E 0003379B
	v_add3_u32 v16, v155, v19, 1                               // 00000000CE04: D1FF0010 0206279B
	v_cndmask_b32_e64 v5, v16, v18, s[46:47]                   // 00000000CE0C: D1000005 00BA2510
	v_perm_b32 v119, v5, v4, s52                               // 00000000CE14: D1ED0077 00D20905
	ds_write_b64 v20, v[84:85]                                 // 00000000CE1C: D89A0000 00005414
	ds_write_b64 v20, v[86:87] offset:4352                     // 00000000CE24: D89A1100 00005614
	ds_write_b64 v20, v[88:89] offset:8704                     // 00000000CE2C: D89A2200 00005814
	ds_write_b64 v20, v[90:91] offset:13056                    // 00000000CE34: D89A3300 00005A14
	ds_write_b64 v20, v[92:93] offset:17408                    // 00000000CE3C: D89A4400 00005C14
	ds_write_b64 v20, v[94:95] offset:21760                    // 00000000CE44: D89A5500 00005E14
	ds_write_b64 v20, v[96:97] offset:26112                    // 00000000CE4C: D89A6600 00006014
	ds_write_b64 v20, v[98:99] offset:30464                    // 00000000CE54: D89A7700 00006214
	ds_write_b64 v20, v[100:101] offset:34816                  // 00000000CE5C: D89A8800 00006414
	ds_write_b64 v20, v[102:103] offset:2176                   // 00000000CE64: D89A0880 00006614
	ds_write_b64 v20, v[104:105] offset:6528                   // 00000000CE6C: D89A1980 00006814
	ds_write_b64 v20, v[106:107] offset:10880                  // 00000000CE74: D89A2A80 00006A14
	ds_write_b64 v20, v[108:109] offset:15232                  // 00000000CE7C: D89A3B80 00006C14
	ds_write_b64 v20, v[110:111] offset:19584                  // 00000000CE84: D89A4C80 00006E14
	ds_write_b64 v20, v[112:113] offset:23936                  // 00000000CE8C: D89A5D80 00007014
	ds_write_b64 v20, v[114:115] offset:28288                  // 00000000CE94: D89A6E80 00007214
	ds_write_b64 v20, v[116:117] offset:32640                  // 00000000CE9C: D89A7F80 00007414
	ds_write_b64 v20, v[118:119] offset:36992                  // 00000000CEA4: D89A9080 00007614
	v_lshrrev_b32_e32 v4, 5, v0                                // 00000000CEAC: 20080085
	v_xor_b32_e32 v5, 1, v4                                    // 00000000CEB0: 2A0A0881
	s_mul_i32 s60, s65, 2                                      // 00000000CEB4: 923C8241
	s_cmp_eq_u32 s88, 0                                        // 00000000CEB8: BF068058
	s_cselect_b32 s61, 1, 4                                    // 00000000CEBC: 853D8481
	s_mul_i32 s60, s61, s60                                    // 00000000CEC0: 923C3C3D
	v_readlane_b32 s82, v3, 0                                  // 00000000CEC4: D2890052 00010103
	s_lshr_b32 s61, s82, 24                                    // 00000000CECC: 8F3D9852
	s_and_b32 s82, s82, 0xffffff                               // 00000000CED0: 8652FF52 00FFFFFF
	s_mul_i32 s82, s82, s71                                    // 00000000CED8: 92524752
	s_mul_i32 s61, s60, s61                                    // 00000000CEDC: 923D3D3C
	s_add_u32 s82, s82, s61                                    // 00000000CEE0: 80523D52
	v_mul_lo_u32 v6, v5, s82                                   // 00000000CEE4: D2850006 0000A505
	v_readlane_b32 s82, v3, 1                                  // 00000000CEEC: D2890052 00010303
	s_lshr_b32 s61, s82, 24                                    // 00000000CEF4: 8F3D9852
	s_and_b32 s82, s82, 0xffffff                               // 00000000CEF8: 8652FF52 00FFFFFF
	s_mul_i32 s82, s82, s71                                    // 00000000CF00: 92524752
	s_mul_i32 s61, s60, s61                                    // 00000000CF04: 923D3D3C
	s_add_u32 s82, s82, s61                                    // 00000000CF08: 80523D52
	v_mul_lo_u32 v7, v4, s82                                   // 00000000CF0C: D2850007 0000A504
	v_add_u32_e32 v64, v6, v7                                  // 00000000CF14: 68800F06
	v_readlane_b32 s82, v3, 2                                  // 00000000CF18: D2890052 00010503
	s_lshr_b32 s61, s82, 24                                    // 00000000CF20: 8F3D9852
	s_and_b32 s82, s82, 0xffffff                               // 00000000CF24: 8652FF52 00FFFFFF
	s_mul_i32 s82, s82, s71                                    // 00000000CF2C: 92524752
	s_mul_i32 s61, s60, s61                                    // 00000000CF30: 923D3D3C
	s_add_u32 s82, s82, s61                                    // 00000000CF34: 80523D52
	v_mul_lo_u32 v6, v5, s82                                   // 00000000CF38: D2850006 0000A505
	v_readlane_b32 s82, v3, 3                                  // 00000000CF40: D2890052 00010703
	s_lshr_b32 s61, s82, 24                                    // 00000000CF48: 8F3D9852
	s_and_b32 s82, s82, 0xffffff                               // 00000000CF4C: 8652FF52 00FFFFFF
	s_mul_i32 s82, s82, s71                                    // 00000000CF54: 92524752
	s_mul_i32 s61, s60, s61                                    // 00000000CF58: 923D3D3C
	s_add_u32 s82, s82, s61                                    // 00000000CF5C: 80523D52
	v_mul_lo_u32 v7, v4, s82                                   // 00000000CF60: D2850007 0000A504
	v_add_u32_e32 v65, v6, v7                                  // 00000000CF68: 68820F06
	v_readlane_b32 s82, v3, 4                                  // 00000000CF6C: D2890052 00010903
	s_lshr_b32 s61, s82, 24                                    // 00000000CF74: 8F3D9852
	s_and_b32 s82, s82, 0xffffff                               // 00000000CF78: 8652FF52 00FFFFFF
	s_mul_i32 s82, s82, s71                                    // 00000000CF80: 92524752
	s_mul_i32 s61, s60, s61                                    // 00000000CF84: 923D3D3C
	s_add_u32 s82, s82, s61                                    // 00000000CF88: 80523D52
	v_mul_lo_u32 v6, v5, s82                                   // 00000000CF8C: D2850006 0000A505
	v_readlane_b32 s82, v3, 5                                  // 00000000CF94: D2890052 00010B03
	s_lshr_b32 s61, s82, 24                                    // 00000000CF9C: 8F3D9852
	s_and_b32 s82, s82, 0xffffff                               // 00000000CFA0: 8652FF52 00FFFFFF
	s_mul_i32 s82, s82, s71                                    // 00000000CFA8: 92524752
	s_mul_i32 s61, s60, s61                                    // 00000000CFAC: 923D3D3C
	s_add_u32 s82, s82, s61                                    // 00000000CFB0: 80523D52
	v_mul_lo_u32 v7, v4, s82                                   // 00000000CFB4: D2850007 0000A504
	v_add_u32_e32 v66, v6, v7                                  // 00000000CFBC: 68840F06
	v_readlane_b32 s82, v3, 6                                  // 00000000CFC0: D2890052 00010D03
	s_lshr_b32 s61, s82, 24                                    // 00000000CFC8: 8F3D9852
	s_and_b32 s82, s82, 0xffffff                               // 00000000CFCC: 8652FF52 00FFFFFF
	s_mul_i32 s82, s82, s71                                    // 00000000CFD4: 92524752
	s_mul_i32 s61, s60, s61                                    // 00000000CFD8: 923D3D3C
	s_add_u32 s82, s82, s61                                    // 00000000CFDC: 80523D52
	v_mul_lo_u32 v6, v5, s82                                   // 00000000CFE0: D2850006 0000A505
	v_readlane_b32 s82, v3, 7                                  // 00000000CFE8: D2890052 00010F03
	s_lshr_b32 s61, s82, 24                                    // 00000000CFF0: 8F3D9852
	s_and_b32 s82, s82, 0xffffff                               // 00000000CFF4: 8652FF52 00FFFFFF
	s_mul_i32 s82, s82, s71                                    // 00000000CFFC: 92524752
	s_mul_i32 s61, s60, s61                                    // 00000000D000: 923D3D3C
	s_add_u32 s82, s82, s61                                    // 00000000D004: 80523D52
	v_mul_lo_u32 v7, v4, s82                                   // 00000000D008: D2850007 0000A504
	v_add_u32_e32 v67, v6, v7                                  // 00000000D010: 68860F06
	v_readlane_b32 s82, v3, 8                                  // 00000000D014: D2890052 00011103
	s_lshr_b32 s61, s82, 24                                    // 00000000D01C: 8F3D9852
	s_and_b32 s82, s82, 0xffffff                               // 00000000D020: 8652FF52 00FFFFFF
	s_mul_i32 s82, s82, s71                                    // 00000000D028: 92524752
	s_mul_i32 s61, s60, s61                                    // 00000000D02C: 923D3D3C
	s_add_u32 s82, s82, s61                                    // 00000000D030: 80523D52
	v_mul_lo_u32 v6, v5, s82                                   // 00000000D034: D2850006 0000A505
	v_readlane_b32 s82, v3, 9                                  // 00000000D03C: D2890052 00011303
	s_lshr_b32 s61, s82, 24                                    // 00000000D044: 8F3D9852
	s_and_b32 s82, s82, 0xffffff                               // 00000000D048: 8652FF52 00FFFFFF
	s_mul_i32 s82, s82, s71                                    // 00000000D050: 92524752
	s_mul_i32 s61, s60, s61                                    // 00000000D054: 923D3D3C
	s_add_u32 s82, s82, s61                                    // 00000000D058: 80523D52
	v_mul_lo_u32 v7, v4, s82                                   // 00000000D05C: D2850007 0000A504
	v_add_u32_e32 v68, v6, v7                                  // 00000000D064: 68880F06
	v_readlane_b32 s82, v3, 10                                 // 00000000D068: D2890052 00011503
	s_lshr_b32 s61, s82, 24                                    // 00000000D070: 8F3D9852
	s_and_b32 s82, s82, 0xffffff                               // 00000000D074: 8652FF52 00FFFFFF
	s_mul_i32 s82, s82, s71                                    // 00000000D07C: 92524752
	s_mul_i32 s61, s60, s61                                    // 00000000D080: 923D3D3C
	s_add_u32 s82, s82, s61                                    // 00000000D084: 80523D52
	v_mul_lo_u32 v6, v5, s82                                   // 00000000D088: D2850006 0000A505
	v_readlane_b32 s82, v3, 11                                 // 00000000D090: D2890052 00011703
	s_lshr_b32 s61, s82, 24                                    // 00000000D098: 8F3D9852
	s_and_b32 s82, s82, 0xffffff                               // 00000000D09C: 8652FF52 00FFFFFF
	s_mul_i32 s82, s82, s71                                    // 00000000D0A4: 92524752
	s_mul_i32 s61, s60, s61                                    // 00000000D0A8: 923D3D3C
	s_add_u32 s82, s82, s61                                    // 00000000D0AC: 80523D52
	v_mul_lo_u32 v7, v4, s82                                   // 00000000D0B0: D2850007 0000A504
	v_add_u32_e32 v69, v6, v7                                  // 00000000D0B8: 688A0F06
	v_readlane_b32 s82, v3, 12                                 // 00000000D0BC: D2890052 00011903
	s_lshr_b32 s61, s82, 24                                    // 00000000D0C4: 8F3D9852
	s_and_b32 s82, s82, 0xffffff                               // 00000000D0C8: 8652FF52 00FFFFFF
	s_mul_i32 s82, s82, s71                                    // 00000000D0D0: 92524752
	s_mul_i32 s61, s60, s61                                    // 00000000D0D4: 923D3D3C
	s_add_u32 s82, s82, s61                                    // 00000000D0D8: 80523D52
	v_mul_lo_u32 v6, v5, s82                                   // 00000000D0DC: D2850006 0000A505
	v_readlane_b32 s82, v3, 13                                 // 00000000D0E4: D2890052 00011B03
	s_lshr_b32 s61, s82, 24                                    // 00000000D0EC: 8F3D9852
	s_and_b32 s82, s82, 0xffffff                               // 00000000D0F0: 8652FF52 00FFFFFF
	s_mul_i32 s82, s82, s71                                    // 00000000D0F8: 92524752
	s_mul_i32 s61, s60, s61                                    // 00000000D0FC: 923D3D3C
	s_add_u32 s82, s82, s61                                    // 00000000D100: 80523D52
	v_mul_lo_u32 v7, v4, s82                                   // 00000000D104: D2850007 0000A504
	v_add_u32_e32 v70, v6, v7                                  // 00000000D10C: 688C0F06
	v_readlane_b32 s82, v3, 14                                 // 00000000D110: D2890052 00011D03
	s_lshr_b32 s61, s82, 24                                    // 00000000D118: 8F3D9852
	s_and_b32 s82, s82, 0xffffff                               // 00000000D11C: 8652FF52 00FFFFFF
	s_mul_i32 s82, s82, s71                                    // 00000000D124: 92524752
	s_mul_i32 s61, s60, s61                                    // 00000000D128: 923D3D3C
	s_add_u32 s82, s82, s61                                    // 00000000D12C: 80523D52
	v_mul_lo_u32 v6, v5, s82                                   // 00000000D130: D2850006 0000A505
	v_readlane_b32 s82, v3, 15                                 // 00000000D138: D2890052 00011F03
	s_lshr_b32 s61, s82, 24                                    // 00000000D140: 8F3D9852
	s_and_b32 s82, s82, 0xffffff                               // 00000000D144: 8652FF52 00FFFFFF
	s_mul_i32 s82, s82, s71                                    // 00000000D14C: 92524752
	s_mul_i32 s61, s60, s61                                    // 00000000D150: 923D3D3C
	s_add_u32 s82, s82, s61                                    // 00000000D154: 80523D52
	v_mul_lo_u32 v7, v4, s82                                   // 00000000D158: D2850007 0000A504
	v_add_u32_e32 v71, v6, v7                                  // 00000000D160: 688E0F06
	v_readlane_b32 s82, v3, 16                                 // 00000000D164: D2890052 00012103
	s_lshr_b32 s61, s82, 24                                    // 00000000D16C: 8F3D9852
	s_and_b32 s82, s82, 0xffffff                               // 00000000D170: 8652FF52 00FFFFFF
	s_mul_i32 s82, s82, s71                                    // 00000000D178: 92524752
	s_mul_i32 s61, s60, s61                                    // 00000000D17C: 923D3D3C
	s_add_u32 s82, s82, s61                                    // 00000000D180: 80523D52
	v_mul_lo_u32 v6, v5, s82                                   // 00000000D184: D2850006 0000A505
	v_readlane_b32 s82, v3, 17                                 // 00000000D18C: D2890052 00012303
	s_lshr_b32 s61, s82, 24                                    // 00000000D194: 8F3D9852
	s_and_b32 s82, s82, 0xffffff                               // 00000000D198: 8652FF52 00FFFFFF
	s_mul_i32 s82, s82, s71                                    // 00000000D1A0: 92524752
	s_mul_i32 s61, s60, s61                                    // 00000000D1A4: 923D3D3C
	s_add_u32 s82, s82, s61                                    // 00000000D1A8: 80523D52
	v_mul_lo_u32 v7, v4, s82                                   // 00000000D1AC: D2850007 0000A504
	v_add_u32_e32 v72, v6, v7                                  // 00000000D1B4: 68900F06
	v_readlane_b32 s82, v3, 18                                 // 00000000D1B8: D2890052 00012503
	s_lshr_b32 s61, s82, 24                                    // 00000000D1C0: 8F3D9852
	s_and_b32 s82, s82, 0xffffff                               // 00000000D1C4: 8652FF52 00FFFFFF
	s_mul_i32 s82, s82, s71                                    // 00000000D1CC: 92524752
	s_mul_i32 s61, s60, s61                                    // 00000000D1D0: 923D3D3C
	s_add_u32 s82, s82, s61                                    // 00000000D1D4: 80523D52
	v_mul_lo_u32 v6, v5, s82                                   // 00000000D1D8: D2850006 0000A505
	v_readlane_b32 s82, v3, 19                                 // 00000000D1E0: D2890052 00012703
	s_lshr_b32 s61, s82, 24                                    // 00000000D1E8: 8F3D9852
	s_and_b32 s82, s82, 0xffffff                               // 00000000D1EC: 8652FF52 00FFFFFF
	s_mul_i32 s82, s82, s71                                    // 00000000D1F4: 92524752
	s_mul_i32 s61, s60, s61                                    // 00000000D1F8: 923D3D3C
	s_add_u32 s82, s82, s61                                    // 00000000D1FC: 80523D52
	v_mul_lo_u32 v7, v4, s82                                   // 00000000D200: D2850007 0000A504
	v_add_u32_e32 v73, v6, v7                                  // 00000000D208: 68920F06
	v_readlane_b32 s82, v3, 20                                 // 00000000D20C: D2890052 00012903
	s_lshr_b32 s61, s82, 24                                    // 00000000D214: 8F3D9852
	s_and_b32 s82, s82, 0xffffff                               // 00000000D218: 8652FF52 00FFFFFF
	s_mul_i32 s82, s82, s71                                    // 00000000D220: 92524752
	s_mul_i32 s61, s60, s61                                    // 00000000D224: 923D3D3C
	s_add_u32 s82, s82, s61                                    // 00000000D228: 80523D52
	v_mul_lo_u32 v6, v5, s82                                   // 00000000D22C: D2850006 0000A505
	v_readlane_b32 s82, v3, 21                                 // 00000000D234: D2890052 00012B03
	s_lshr_b32 s61, s82, 24                                    // 00000000D23C: 8F3D9852
	s_and_b32 s82, s82, 0xffffff                               // 00000000D240: 8652FF52 00FFFFFF
	s_mul_i32 s82, s82, s71                                    // 00000000D248: 92524752
	s_mul_i32 s61, s60, s61                                    // 00000000D24C: 923D3D3C
	s_add_u32 s82, s82, s61                                    // 00000000D250: 80523D52
	v_mul_lo_u32 v7, v4, s82                                   // 00000000D254: D2850007 0000A504
	v_add_u32_e32 v74, v6, v7                                  // 00000000D25C: 68940F06
	v_readlane_b32 s82, v3, 22                                 // 00000000D260: D2890052 00012D03
	s_lshr_b32 s61, s82, 24                                    // 00000000D268: 8F3D9852
	s_and_b32 s82, s82, 0xffffff                               // 00000000D26C: 8652FF52 00FFFFFF
	s_mul_i32 s82, s82, s71                                    // 00000000D274: 92524752
	s_mul_i32 s61, s60, s61                                    // 00000000D278: 923D3D3C
	s_add_u32 s82, s82, s61                                    // 00000000D27C: 80523D52
	v_mul_lo_u32 v6, v5, s82                                   // 00000000D280: D2850006 0000A505
	v_readlane_b32 s82, v3, 23                                 // 00000000D288: D2890052 00012F03
	s_lshr_b32 s61, s82, 24                                    // 00000000D290: 8F3D9852
	s_and_b32 s82, s82, 0xffffff                               // 00000000D294: 8652FF52 00FFFFFF
	s_mul_i32 s82, s82, s71                                    // 00000000D29C: 92524752
	s_mul_i32 s61, s60, s61                                    // 00000000D2A0: 923D3D3C
	s_add_u32 s82, s82, s61                                    // 00000000D2A4: 80523D52
	v_mul_lo_u32 v7, v4, s82                                   // 00000000D2A8: D2850007 0000A504
	v_add_u32_e32 v75, v6, v7                                  // 00000000D2B0: 68960F06
	v_readlane_b32 s82, v3, 24                                 // 00000000D2B4: D2890052 00013103
	s_lshr_b32 s61, s82, 24                                    // 00000000D2BC: 8F3D9852
	s_and_b32 s82, s82, 0xffffff                               // 00000000D2C0: 8652FF52 00FFFFFF
	s_mul_i32 s82, s82, s71                                    // 00000000D2C8: 92524752
	s_mul_i32 s61, s60, s61                                    // 00000000D2CC: 923D3D3C
	s_add_u32 s82, s82, s61                                    // 00000000D2D0: 80523D52
	v_mul_lo_u32 v6, v5, s82                                   // 00000000D2D4: D2850006 0000A505
	v_readlane_b32 s82, v3, 25                                 // 00000000D2DC: D2890052 00013303
	s_lshr_b32 s61, s82, 24                                    // 00000000D2E4: 8F3D9852
	s_and_b32 s82, s82, 0xffffff                               // 00000000D2E8: 8652FF52 00FFFFFF
	s_mul_i32 s82, s82, s71                                    // 00000000D2F0: 92524752
	s_mul_i32 s61, s60, s61                                    // 00000000D2F4: 923D3D3C
	s_add_u32 s82, s82, s61                                    // 00000000D2F8: 80523D52
	v_mul_lo_u32 v7, v4, s82                                   // 00000000D2FC: D2850007 0000A504
	v_add_u32_e32 v76, v6, v7                                  // 00000000D304: 68980F06
	v_readlane_b32 s82, v3, 26                                 // 00000000D308: D2890052 00013503
	s_lshr_b32 s61, s82, 24                                    // 00000000D310: 8F3D9852
	s_and_b32 s82, s82, 0xffffff                               // 00000000D314: 8652FF52 00FFFFFF
	s_mul_i32 s82, s82, s71                                    // 00000000D31C: 92524752
	s_mul_i32 s61, s60, s61                                    // 00000000D320: 923D3D3C
	s_add_u32 s82, s82, s61                                    // 00000000D324: 80523D52
	v_mul_lo_u32 v6, v5, s82                                   // 00000000D328: D2850006 0000A505
	v_readlane_b32 s82, v3, 27                                 // 00000000D330: D2890052 00013703
	s_lshr_b32 s61, s82, 24                                    // 00000000D338: 8F3D9852
	s_and_b32 s82, s82, 0xffffff                               // 00000000D33C: 8652FF52 00FFFFFF
	s_mul_i32 s82, s82, s71                                    // 00000000D344: 92524752
	s_mul_i32 s61, s60, s61                                    // 00000000D348: 923D3D3C
	s_add_u32 s82, s82, s61                                    // 00000000D34C: 80523D52
	v_mul_lo_u32 v7, v4, s82                                   // 00000000D350: D2850007 0000A504
	v_add_u32_e32 v77, v6, v7                                  // 00000000D358: 689A0F06
	v_readlane_b32 s82, v3, 28                                 // 00000000D35C: D2890052 00013903
	s_lshr_b32 s61, s82, 24                                    // 00000000D364: 8F3D9852
	s_and_b32 s82, s82, 0xffffff                               // 00000000D368: 8652FF52 00FFFFFF
	s_mul_i32 s82, s82, s71                                    // 00000000D370: 92524752
	s_mul_i32 s61, s60, s61                                    // 00000000D374: 923D3D3C
	s_add_u32 s82, s82, s61                                    // 00000000D378: 80523D52
	v_mul_lo_u32 v6, v5, s82                                   // 00000000D37C: D2850006 0000A505
	v_readlane_b32 s82, v3, 29                                 // 00000000D384: D2890052 00013B03
	s_lshr_b32 s61, s82, 24                                    // 00000000D38C: 8F3D9852
	s_and_b32 s82, s82, 0xffffff                               // 00000000D390: 8652FF52 00FFFFFF
	s_mul_i32 s82, s82, s71                                    // 00000000D398: 92524752
	s_mul_i32 s61, s60, s61                                    // 00000000D39C: 923D3D3C
	s_add_u32 s82, s82, s61                                    // 00000000D3A0: 80523D52
	v_mul_lo_u32 v7, v4, s82                                   // 00000000D3A4: D2850007 0000A504
	v_add_u32_e32 v78, v6, v7                                  // 00000000D3AC: 689C0F06
	v_readlane_b32 s82, v3, 30                                 // 00000000D3B0: D2890052 00013D03
	s_lshr_b32 s61, s82, 24                                    // 00000000D3B8: 8F3D9852
	s_and_b32 s82, s82, 0xffffff                               // 00000000D3BC: 8652FF52 00FFFFFF
	s_mul_i32 s82, s82, s71                                    // 00000000D3C4: 92524752
	s_mul_i32 s61, s60, s61                                    // 00000000D3C8: 923D3D3C
	s_add_u32 s82, s82, s61                                    // 00000000D3CC: 80523D52
	v_mul_lo_u32 v6, v5, s82                                   // 00000000D3D0: D2850006 0000A505
	v_readlane_b32 s82, v3, 31                                 // 00000000D3D8: D2890052 00013F03
	s_lshr_b32 s61, s82, 24                                    // 00000000D3E0: 8F3D9852
	s_and_b32 s82, s82, 0xffffff                               // 00000000D3E4: 8652FF52 00FFFFFF
	s_mul_i32 s82, s82, s71                                    // 00000000D3EC: 92524752
	s_mul_i32 s61, s60, s61                                    // 00000000D3F0: 923D3D3C
	s_add_u32 s82, s82, s61                                    // 00000000D3F4: 80523D52
	v_mul_lo_u32 v7, v4, s82                                   // 00000000D3F8: D2850007 0000A504
	v_add_u32_e32 v79, v6, v7                                  // 00000000D400: 689E0F06
	v_readlane_b32 s82, v3, 32                                 // 00000000D404: D2890052 00014103
	s_lshr_b32 s61, s82, 24                                    // 00000000D40C: 8F3D9852
	s_and_b32 s82, s82, 0xffffff                               // 00000000D410: 8652FF52 00FFFFFF
	s_mul_i32 s82, s82, s71                                    // 00000000D418: 92524752
	s_mul_i32 s61, s60, s61                                    // 00000000D41C: 923D3D3C
	s_add_u32 s82, s82, s61                                    // 00000000D420: 80523D52
	v_mul_lo_u32 v6, v5, s82                                   // 00000000D424: D2850006 0000A505
	v_readlane_b32 s82, v3, 33                                 // 00000000D42C: D2890052 00014303
	s_lshr_b32 s61, s82, 24                                    // 00000000D434: 8F3D9852
	s_and_b32 s82, s82, 0xffffff                               // 00000000D438: 8652FF52 00FFFFFF
	s_mul_i32 s82, s82, s71                                    // 00000000D440: 92524752
	s_mul_i32 s61, s60, s61                                    // 00000000D444: 923D3D3C
	s_add_u32 s82, s82, s61                                    // 00000000D448: 80523D52
	v_mul_lo_u32 v7, v4, s82                                   // 00000000D44C: D2850007 0000A504
	v_add_u32_e32 v80, v6, v7                                  // 00000000D454: 68A00F06
	v_readlane_b32 s82, v3, 34                                 // 00000000D458: D2890052 00014503
	s_lshr_b32 s61, s82, 24                                    // 00000000D460: 8F3D9852
	s_and_b32 s82, s82, 0xffffff                               // 00000000D464: 8652FF52 00FFFFFF
	s_mul_i32 s82, s82, s71                                    // 00000000D46C: 92524752
	s_mul_i32 s61, s60, s61                                    // 00000000D470: 923D3D3C
	s_add_u32 s82, s82, s61                                    // 00000000D474: 80523D52
	v_mul_lo_u32 v6, v5, s82                                   // 00000000D478: D2850006 0000A505
	v_readlane_b32 s82, v3, 35                                 // 00000000D480: D2890052 00014703
	s_lshr_b32 s61, s82, 24                                    // 00000000D488: 8F3D9852
	s_and_b32 s82, s82, 0xffffff                               // 00000000D48C: 8652FF52 00FFFFFF
	s_mul_i32 s82, s82, s71                                    // 00000000D494: 92524752
	s_mul_i32 s61, s60, s61                                    // 00000000D498: 923D3D3C
	s_add_u32 s82, s82, s61                                    // 00000000D49C: 80523D52
	v_mul_lo_u32 v7, v4, s82                                   // 00000000D4A0: D2850007 0000A504
	v_add_u32_e32 v81, v6, v7                                  // 00000000D4A8: 68A20F06
	v_and_b32_e32 v4, 31, v0                                   // 00000000D4AC: 2608009F
	v_lshrrev_b32_e32 v4, 1, v4                                // 00000000D4B0: 20080881
	s_cmp_eq_u32 s88, 0                                        // 00000000D4B4: BF068058
	s_cselect_b32 s61, 2, 4                                    // 00000000D4B8: 853D8482
	v_mul_lo_u32 v4, v4, s61                                   // 00000000D4BC: D2850004 00007B04
	v_and_b32_e64 v5, v0, 1                                    // 00000000D4C4: D1130005 00010300
	v_add_u32_e32 v4, v4, v5                                   // 00000000D4CC: 68080B04
	v_lshlrev_b32_e32 v4, 2, v4                                // 00000000D4D0: 24080882
	v_add_u32_e32 v64, v64, v4                                 // 00000000D4D4: 68800940
	v_add_u32_e32 v65, v65, v4                                 // 00000000D4D8: 68820941
	v_add_u32_e32 v66, v66, v4                                 // 00000000D4DC: 68840942
	v_add_u32_e32 v67, v67, v4                                 // 00000000D4E0: 68860943
	v_add_u32_e32 v68, v68, v4                                 // 00000000D4E4: 68880944
	v_add_u32_e32 v69, v69, v4                                 // 00000000D4E8: 688A0945
	v_add_u32_e32 v70, v70, v4                                 // 00000000D4EC: 688C0946
	v_add_u32_e32 v71, v71, v4                                 // 00000000D4F0: 688E0947
	v_add_u32_e32 v72, v72, v4                                 // 00000000D4F4: 68900948
	v_add_u32_e32 v73, v73, v4                                 // 00000000D4F8: 68920949
	v_add_u32_e32 v74, v74, v4                                 // 00000000D4FC: 6894094A
	v_add_u32_e32 v75, v75, v4                                 // 00000000D500: 6896094B
	v_add_u32_e32 v76, v76, v4                                 // 00000000D504: 6898094C
	v_add_u32_e32 v77, v77, v4                                 // 00000000D508: 689A094D
	v_add_u32_e32 v78, v78, v4                                 // 00000000D50C: 689C094E
	v_add_u32_e32 v79, v79, v4                                 // 00000000D510: 689E094F
	v_add_u32_e32 v80, v80, v4                                 // 00000000D514: 68A00950
	v_add_u32_e32 v81, v81, v4                                 // 00000000D518: 68A20951
	s_waitcnt lgkmcnt(0)                                       // 00000000D51C: BF8CC07F
	s_barrier                                                  // 00000000D520: BF8A0000
	ds_read_b32 v84, v21                                       // 00000000D524: D86C0000 54000015
	ds_read_b32 v85, v21 offset:64                             // 00000000D52C: D86C0040 55000015
	ds_read_b32 v86, v21 offset:2176                           // 00000000D534: D86C0880 56000015
	ds_read_b32 v87, v21 offset:2240                           // 00000000D53C: D86C08C0 57000015
	ds_read_b32 v88, v21 offset:4352                           // 00000000D544: D86C1100 58000015
	ds_read_b32 v89, v21 offset:4416                           // 00000000D54C: D86C1140 59000015
	ds_read_b32 v90, v21 offset:6528                           // 00000000D554: D86C1980 5A000015
	ds_read_b32 v91, v21 offset:6592                           // 00000000D55C: D86C19C0 5B000015
	ds_read_b32 v92, v21 offset:8704                           // 00000000D564: D86C2200 5C000015
	ds_read_b32 v93, v21 offset:8768                           // 00000000D56C: D86C2240 5D000015
	ds_read_b32 v94, v21 offset:10880                          // 00000000D574: D86C2A80 5E000015
	ds_read_b32 v95, v21 offset:10944                          // 00000000D57C: D86C2AC0 5F000015
	ds_read_b32 v96, v21 offset:13056                          // 00000000D584: D86C3300 60000015
	ds_read_b32 v97, v21 offset:13120                          // 00000000D58C: D86C3340 61000015
	ds_read_b32 v98, v21 offset:15232                          // 00000000D594: D86C3B80 62000015
	ds_read_b32 v99, v21 offset:15296                          // 00000000D59C: D86C3BC0 63000015
	ds_read_b32 v100, v21 offset:17408                         // 00000000D5A4: D86C4400 64000015
	ds_read_b32 v101, v21 offset:17472                         // 00000000D5AC: D86C4440 65000015
	ds_read_b32 v102, v21 offset:19584                         // 00000000D5B4: D86C4C80 66000015
	ds_read_b32 v103, v21 offset:19648                         // 00000000D5BC: D86C4CC0 67000015
	ds_read_b32 v104, v21 offset:21760                         // 00000000D5C4: D86C5500 68000015
	ds_read_b32 v105, v21 offset:21824                         // 00000000D5CC: D86C5540 69000015
	ds_read_b32 v106, v21 offset:23936                         // 00000000D5D4: D86C5D80 6A000015
	ds_read_b32 v107, v21 offset:24000                         // 00000000D5DC: D86C5DC0 6B000015
	ds_read_b32 v108, v21 offset:26112                         // 00000000D5E4: D86C6600 6C000015
	ds_read_b32 v109, v21 offset:26176                         // 00000000D5EC: D86C6640 6D000015
	ds_read_b32 v110, v21 offset:28288                         // 00000000D5F4: D86C6E80 6E000015
	ds_read_b32 v111, v21 offset:28352                         // 00000000D5FC: D86C6EC0 6F000015
	ds_read_b32 v112, v21 offset:30464                         // 00000000D604: D86C7700 70000015
	ds_read_b32 v113, v21 offset:30528                         // 00000000D60C: D86C7740 71000015
	ds_read_b32 v114, v21 offset:32640                         // 00000000D614: D86C7F80 72000015
	ds_read_b32 v115, v21 offset:32704                         // 00000000D61C: D86C7FC0 73000015
	ds_read_b32 v116, v21 offset:34816                         // 00000000D624: D86C8800 74000015
	ds_read_b32 v117, v21 offset:34880                         // 00000000D62C: D86C8840 75000015
	ds_read_b32 v118, v21 offset:36992                         // 00000000D634: D86C9080 76000015
	ds_read_b32 v119, v21 offset:37056                         // 00000000D63C: D86C90C0 77000015
	s_waitcnt lgkmcnt(0)                                       // 00000000D644: BF8CC07F
	s_mov_b32 s36, -1                                          // 00000000D648: BEA400C1
	s_mov_b32 s37, -1                                          // 00000000D64C: BEA500C1
	v_mov_b32_e32 v7, 0                                        // 00000000D650: 7E0E0280
	s_or_b32 s9, s9, 0x40000                                   // 00000000D654: 8709FF09 00040000
	s_mov_b64 exec, s[36:37]                                   // 00000000D65C: BEFE0124
	v_mov_b32_e32 v6, v64                                      // 00000000D660: 7E0C0340
	s_mov_b64 s[60:61], 0                                      // 00000000D664: BEBC0180
	v_readlane_b32 s82, v3, 0                                  // 00000000D668: D2890052 00010103
	s_and_b32 s82, s82, 0xffffff                               // 00000000D670: 8652FF52 00FFFFFF
	s_cmp_lt_u32 s82, s66                                      // 00000000D678: BF0A4252
	s_cselect_b32 s20, s36, s60                                // 00000000D67C: 85143C24
	v_readlane_b32 s82, v3, 1                                  // 00000000D680: D2890052 00010303
	s_and_b32 s82, s82, 0xffffff                               // 00000000D688: 8652FF52 00FFFFFF
	s_cmp_lt_u32 s82, s66                                      // 00000000D690: BF0A4252
	s_cselect_b32 s21, s36, s60                                // 00000000D694: 85153C24
	s_mov_b64 exec, s[20:21]                                   // 00000000D698: BEFE0114
	buffer_store_dword v84, v6, s[8:11], 0 offen               // 00000000D69C: E0701000 80025406
	buffer_store_dword v86, v6, s[8:11], 0 offen offset:128    // 00000000D6A4: E0701080 80025606
	s_mov_b64 exec, s[36:37]                                   // 00000000D6AC: BEFE0124
	v_mov_b32_e32 v6, v65                                      // 00000000D6B0: 7E0C0341
	s_mov_b64 s[60:61], 0                                      // 00000000D6B4: BEBC0180
	v_readlane_b32 s82, v3, 2                                  // 00000000D6B8: D2890052 00010503
	s_and_b32 s82, s82, 0xffffff                               // 00000000D6C0: 8652FF52 00FFFFFF
	s_cmp_lt_u32 s82, s66                                      // 00000000D6C8: BF0A4252
	s_cselect_b32 s20, s36, s60                                // 00000000D6CC: 85143C24
	v_readlane_b32 s82, v3, 3                                  // 00000000D6D0: D2890052 00010703
	s_and_b32 s82, s82, 0xffffff                               // 00000000D6D8: 8652FF52 00FFFFFF
	s_cmp_lt_u32 s82, s66                                      // 00000000D6E0: BF0A4252
	s_cselect_b32 s21, s36, s60                                // 00000000D6E4: 85153C24
	s_mov_b64 exec, s[20:21]                                   // 00000000D6E8: BEFE0114
	buffer_store_dword v85, v6, s[8:11], 0 offen               // 00000000D6EC: E0701000 80025506
	buffer_store_dword v87, v6, s[8:11], 0 offen offset:128    // 00000000D6F4: E0701080 80025706
	s_mov_b64 exec, s[36:37]                                   // 00000000D6FC: BEFE0124
	v_mov_b32_e32 v6, v66                                      // 00000000D700: 7E0C0342
	s_mov_b64 s[60:61], 0                                      // 00000000D704: BEBC0180
	v_readlane_b32 s82, v3, 4                                  // 00000000D708: D2890052 00010903
	s_and_b32 s82, s82, 0xffffff                               // 00000000D710: 8652FF52 00FFFFFF
	s_cmp_lt_u32 s82, s66                                      // 00000000D718: BF0A4252
	s_cselect_b32 s20, s36, s60                                // 00000000D71C: 85143C24
	v_readlane_b32 s82, v3, 5                                  // 00000000D720: D2890052 00010B03
	s_and_b32 s82, s82, 0xffffff                               // 00000000D728: 8652FF52 00FFFFFF
	s_cmp_lt_u32 s82, s66                                      // 00000000D730: BF0A4252
	s_cselect_b32 s21, s36, s60                                // 00000000D734: 85153C24
	s_mov_b64 exec, s[20:21]                                   // 00000000D738: BEFE0114
	buffer_store_dword v88, v6, s[8:11], 0 offen               // 00000000D73C: E0701000 80025806
	buffer_store_dword v90, v6, s[8:11], 0 offen offset:128    // 00000000D744: E0701080 80025A06
	s_mov_b64 exec, s[36:37]                                   // 00000000D74C: BEFE0124
	v_mov_b32_e32 v6, v67                                      // 00000000D750: 7E0C0343
	s_mov_b64 s[60:61], 0                                      // 00000000D754: BEBC0180
	v_readlane_b32 s82, v3, 6                                  // 00000000D758: D2890052 00010D03
	s_and_b32 s82, s82, 0xffffff                               // 00000000D760: 8652FF52 00FFFFFF
	s_cmp_lt_u32 s82, s66                                      // 00000000D768: BF0A4252
	s_cselect_b32 s20, s36, s60                                // 00000000D76C: 85143C24
	v_readlane_b32 s82, v3, 7                                  // 00000000D770: D2890052 00010F03
	s_and_b32 s82, s82, 0xffffff                               // 00000000D778: 8652FF52 00FFFFFF
	s_cmp_lt_u32 s82, s66                                      // 00000000D780: BF0A4252
	s_cselect_b32 s21, s36, s60                                // 00000000D784: 85153C24
	s_mov_b64 exec, s[20:21]                                   // 00000000D788: BEFE0114
	buffer_store_dword v89, v6, s[8:11], 0 offen               // 00000000D78C: E0701000 80025906
	buffer_store_dword v91, v6, s[8:11], 0 offen offset:128    // 00000000D794: E0701080 80025B06
	s_mov_b64 exec, s[36:37]                                   // 00000000D79C: BEFE0124
	v_mov_b32_e32 v6, v68                                      // 00000000D7A0: 7E0C0344
	s_mov_b64 s[60:61], 0                                      // 00000000D7A4: BEBC0180
	v_readlane_b32 s82, v3, 8                                  // 00000000D7A8: D2890052 00011103
	s_and_b32 s82, s82, 0xffffff                               // 00000000D7B0: 8652FF52 00FFFFFF
	s_cmp_lt_u32 s82, s66                                      // 00000000D7B8: BF0A4252
	s_cselect_b32 s20, s36, s60                                // 00000000D7BC: 85143C24
	v_readlane_b32 s82, v3, 9                                  // 00000000D7C0: D2890052 00011303
	s_and_b32 s82, s82, 0xffffff                               // 00000000D7C8: 8652FF52 00FFFFFF
	s_cmp_lt_u32 s82, s66                                      // 00000000D7D0: BF0A4252
	s_cselect_b32 s21, s36, s60                                // 00000000D7D4: 85153C24
	s_mov_b64 exec, s[20:21]                                   // 00000000D7D8: BEFE0114
	buffer_store_dword v92, v6, s[8:11], 0 offen               // 00000000D7DC: E0701000 80025C06
	buffer_store_dword v94, v6, s[8:11], 0 offen offset:128    // 00000000D7E4: E0701080 80025E06
	s_mov_b64 exec, s[36:37]                                   // 00000000D7EC: BEFE0124
	v_mov_b32_e32 v6, v69                                      // 00000000D7F0: 7E0C0345
	s_mov_b64 s[60:61], 0                                      // 00000000D7F4: BEBC0180
	v_readlane_b32 s82, v3, 10                                 // 00000000D7F8: D2890052 00011503
	s_and_b32 s82, s82, 0xffffff                               // 00000000D800: 8652FF52 00FFFFFF
	s_cmp_lt_u32 s82, s66                                      // 00000000D808: BF0A4252
	s_cselect_b32 s20, s36, s60                                // 00000000D80C: 85143C24
	v_readlane_b32 s82, v3, 11                                 // 00000000D810: D2890052 00011703
	s_and_b32 s82, s82, 0xffffff                               // 00000000D818: 8652FF52 00FFFFFF
	s_cmp_lt_u32 s82, s66                                      // 00000000D820: BF0A4252
	s_cselect_b32 s21, s36, s60                                // 00000000D824: 85153C24
	s_mov_b64 exec, s[20:21]                                   // 00000000D828: BEFE0114
	buffer_store_dword v93, v6, s[8:11], 0 offen               // 00000000D82C: E0701000 80025D06
	buffer_store_dword v95, v6, s[8:11], 0 offen offset:128    // 00000000D834: E0701080 80025F06
	s_mov_b64 exec, s[36:37]                                   // 00000000D83C: BEFE0124
	v_mov_b32_e32 v6, v70                                      // 00000000D840: 7E0C0346
	s_mov_b64 s[60:61], 0                                      // 00000000D844: BEBC0180
	v_readlane_b32 s82, v3, 12                                 // 00000000D848: D2890052 00011903
	s_and_b32 s82, s82, 0xffffff                               // 00000000D850: 8652FF52 00FFFFFF
	s_cmp_lt_u32 s82, s66                                      // 00000000D858: BF0A4252
	s_cselect_b32 s20, s36, s60                                // 00000000D85C: 85143C24
	v_readlane_b32 s82, v3, 13                                 // 00000000D860: D2890052 00011B03
	s_and_b32 s82, s82, 0xffffff                               // 00000000D868: 8652FF52 00FFFFFF
	s_cmp_lt_u32 s82, s66                                      // 00000000D870: BF0A4252
	s_cselect_b32 s21, s36, s60                                // 00000000D874: 85153C24
	s_mov_b64 exec, s[20:21]                                   // 00000000D878: BEFE0114
	buffer_store_dword v96, v6, s[8:11], 0 offen               // 00000000D87C: E0701000 80026006
	buffer_store_dword v98, v6, s[8:11], 0 offen offset:128    // 00000000D884: E0701080 80026206
	s_mov_b64 exec, s[36:37]                                   // 00000000D88C: BEFE0124
	v_mov_b32_e32 v6, v71                                      // 00000000D890: 7E0C0347
	s_mov_b64 s[60:61], 0                                      // 00000000D894: BEBC0180
	v_readlane_b32 s82, v3, 14                                 // 00000000D898: D2890052 00011D03
	s_and_b32 s82, s82, 0xffffff                               // 00000000D8A0: 8652FF52 00FFFFFF
	s_cmp_lt_u32 s82, s66                                      // 00000000D8A8: BF0A4252
	s_cselect_b32 s20, s36, s60                                // 00000000D8AC: 85143C24
	v_readlane_b32 s82, v3, 15                                 // 00000000D8B0: D2890052 00011F03
	s_and_b32 s82, s82, 0xffffff                               // 00000000D8B8: 8652FF52 00FFFFFF
	s_cmp_lt_u32 s82, s66                                      // 00000000D8C0: BF0A4252
	s_cselect_b32 s21, s36, s60                                // 00000000D8C4: 85153C24
	s_mov_b64 exec, s[20:21]                                   // 00000000D8C8: BEFE0114
	buffer_store_dword v97, v6, s[8:11], 0 offen               // 00000000D8CC: E0701000 80026106
	buffer_store_dword v99, v6, s[8:11], 0 offen offset:128    // 00000000D8D4: E0701080 80026306
	s_mov_b64 exec, s[36:37]                                   // 00000000D8DC: BEFE0124
	v_mov_b32_e32 v6, v72                                      // 00000000D8E0: 7E0C0348
	s_mov_b64 s[60:61], 0                                      // 00000000D8E4: BEBC0180
	v_readlane_b32 s82, v3, 16                                 // 00000000D8E8: D2890052 00012103
	s_and_b32 s82, s82, 0xffffff                               // 00000000D8F0: 8652FF52 00FFFFFF
	s_cmp_lt_u32 s82, s66                                      // 00000000D8F8: BF0A4252
	s_cselect_b32 s20, s36, s60                                // 00000000D8FC: 85143C24
	v_readlane_b32 s82, v3, 17                                 // 00000000D900: D2890052 00012303
	s_and_b32 s82, s82, 0xffffff                               // 00000000D908: 8652FF52 00FFFFFF
	s_cmp_lt_u32 s82, s66                                      // 00000000D910: BF0A4252
	s_cselect_b32 s21, s36, s60                                // 00000000D914: 85153C24
	s_mov_b64 exec, s[20:21]                                   // 00000000D918: BEFE0114
	buffer_store_dword v100, v6, s[8:11], 0 offen              // 00000000D91C: E0701000 80026406
	buffer_store_dword v102, v6, s[8:11], 0 offen offset:128   // 00000000D924: E0701080 80026606
	s_mov_b64 exec, s[36:37]                                   // 00000000D92C: BEFE0124
	v_mov_b32_e32 v6, v73                                      // 00000000D930: 7E0C0349
	s_mov_b64 s[60:61], 0                                      // 00000000D934: BEBC0180
	v_readlane_b32 s82, v3, 18                                 // 00000000D938: D2890052 00012503
	s_and_b32 s82, s82, 0xffffff                               // 00000000D940: 8652FF52 00FFFFFF
	s_cmp_lt_u32 s82, s66                                      // 00000000D948: BF0A4252
	s_cselect_b32 s20, s36, s60                                // 00000000D94C: 85143C24
	v_readlane_b32 s82, v3, 19                                 // 00000000D950: D2890052 00012703
	s_and_b32 s82, s82, 0xffffff                               // 00000000D958: 8652FF52 00FFFFFF
	s_cmp_lt_u32 s82, s66                                      // 00000000D960: BF0A4252
	s_cselect_b32 s21, s36, s60                                // 00000000D964: 85153C24
	s_mov_b64 exec, s[20:21]                                   // 00000000D968: BEFE0114
	buffer_store_dword v101, v6, s[8:11], 0 offen              // 00000000D96C: E0701000 80026506
	buffer_store_dword v103, v6, s[8:11], 0 offen offset:128   // 00000000D974: E0701080 80026706
	s_mov_b64 exec, s[36:37]                                   // 00000000D97C: BEFE0124
	v_mov_b32_e32 v6, v74                                      // 00000000D980: 7E0C034A
	s_mov_b64 s[60:61], 0                                      // 00000000D984: BEBC0180
	v_readlane_b32 s82, v3, 20                                 // 00000000D988: D2890052 00012903
	s_and_b32 s82, s82, 0xffffff                               // 00000000D990: 8652FF52 00FFFFFF
	s_cmp_lt_u32 s82, s66                                      // 00000000D998: BF0A4252
	s_cselect_b32 s20, s36, s60                                // 00000000D99C: 85143C24
	v_readlane_b32 s82, v3, 21                                 // 00000000D9A0: D2890052 00012B03
	s_and_b32 s82, s82, 0xffffff                               // 00000000D9A8: 8652FF52 00FFFFFF
	s_cmp_lt_u32 s82, s66                                      // 00000000D9B0: BF0A4252
	s_cselect_b32 s21, s36, s60                                // 00000000D9B4: 85153C24
	s_mov_b64 exec, s[20:21]                                   // 00000000D9B8: BEFE0114
	buffer_store_dword v104, v6, s[8:11], 0 offen              // 00000000D9BC: E0701000 80026806
	buffer_store_dword v106, v6, s[8:11], 0 offen offset:128   // 00000000D9C4: E0701080 80026A06
	s_mov_b64 exec, s[36:37]                                   // 00000000D9CC: BEFE0124
	v_mov_b32_e32 v6, v75                                      // 00000000D9D0: 7E0C034B
	s_mov_b64 s[60:61], 0                                      // 00000000D9D4: BEBC0180
	v_readlane_b32 s82, v3, 22                                 // 00000000D9D8: D2890052 00012D03
	s_and_b32 s82, s82, 0xffffff                               // 00000000D9E0: 8652FF52 00FFFFFF
	s_cmp_lt_u32 s82, s66                                      // 00000000D9E8: BF0A4252
	s_cselect_b32 s20, s36, s60                                // 00000000D9EC: 85143C24
	v_readlane_b32 s82, v3, 23                                 // 00000000D9F0: D2890052 00012F03
	s_and_b32 s82, s82, 0xffffff                               // 00000000D9F8: 8652FF52 00FFFFFF
	s_cmp_lt_u32 s82, s66                                      // 00000000DA00: BF0A4252
	s_cselect_b32 s21, s36, s60                                // 00000000DA04: 85153C24
	s_mov_b64 exec, s[20:21]                                   // 00000000DA08: BEFE0114
	buffer_store_dword v105, v6, s[8:11], 0 offen              // 00000000DA0C: E0701000 80026906
	buffer_store_dword v107, v6, s[8:11], 0 offen offset:128   // 00000000DA14: E0701080 80026B06
	s_mov_b64 exec, s[36:37]                                   // 00000000DA1C: BEFE0124
	v_mov_b32_e32 v6, v76                                      // 00000000DA20: 7E0C034C
	s_mov_b64 s[60:61], 0                                      // 00000000DA24: BEBC0180
	v_readlane_b32 s82, v3, 24                                 // 00000000DA28: D2890052 00013103
	s_and_b32 s82, s82, 0xffffff                               // 00000000DA30: 8652FF52 00FFFFFF
	s_cmp_lt_u32 s82, s66                                      // 00000000DA38: BF0A4252
	s_cselect_b32 s20, s36, s60                                // 00000000DA3C: 85143C24
	v_readlane_b32 s82, v3, 25                                 // 00000000DA40: D2890052 00013303
	s_and_b32 s82, s82, 0xffffff                               // 00000000DA48: 8652FF52 00FFFFFF
	s_cmp_lt_u32 s82, s66                                      // 00000000DA50: BF0A4252
	s_cselect_b32 s21, s36, s60                                // 00000000DA54: 85153C24
	s_mov_b64 exec, s[20:21]                                   // 00000000DA58: BEFE0114
	buffer_store_dword v108, v6, s[8:11], 0 offen              // 00000000DA5C: E0701000 80026C06
	buffer_store_dword v110, v6, s[8:11], 0 offen offset:128   // 00000000DA64: E0701080 80026E06
	s_mov_b64 exec, s[36:37]                                   // 00000000DA6C: BEFE0124
	v_mov_b32_e32 v6, v77                                      // 00000000DA70: 7E0C034D
	s_mov_b64 s[60:61], 0                                      // 00000000DA74: BEBC0180
	v_readlane_b32 s82, v3, 26                                 // 00000000DA78: D2890052 00013503
	s_and_b32 s82, s82, 0xffffff                               // 00000000DA80: 8652FF52 00FFFFFF
	s_cmp_lt_u32 s82, s66                                      // 00000000DA88: BF0A4252
	s_cselect_b32 s20, s36, s60                                // 00000000DA8C: 85143C24
	v_readlane_b32 s82, v3, 27                                 // 00000000DA90: D2890052 00013703
	s_and_b32 s82, s82, 0xffffff                               // 00000000DA98: 8652FF52 00FFFFFF
	s_cmp_lt_u32 s82, s66                                      // 00000000DAA0: BF0A4252
	s_cselect_b32 s21, s36, s60                                // 00000000DAA4: 85153C24
	s_mov_b64 exec, s[20:21]                                   // 00000000DAA8: BEFE0114
	buffer_store_dword v109, v6, s[8:11], 0 offen              // 00000000DAAC: E0701000 80026D06
	buffer_store_dword v111, v6, s[8:11], 0 offen offset:128   // 00000000DAB4: E0701080 80026F06
	s_mov_b64 exec, s[36:37]                                   // 00000000DABC: BEFE0124
	v_mov_b32_e32 v6, v78                                      // 00000000DAC0: 7E0C034E
	s_mov_b64 s[60:61], 0                                      // 00000000DAC4: BEBC0180
	v_readlane_b32 s82, v3, 28                                 // 00000000DAC8: D2890052 00013903
	s_and_b32 s82, s82, 0xffffff                               // 00000000DAD0: 8652FF52 00FFFFFF
	s_cmp_lt_u32 s82, s66                                      // 00000000DAD8: BF0A4252
	s_cselect_b32 s20, s36, s60                                // 00000000DADC: 85143C24
	v_readlane_b32 s82, v3, 29                                 // 00000000DAE0: D2890052 00013B03
	s_and_b32 s82, s82, 0xffffff                               // 00000000DAE8: 8652FF52 00FFFFFF
	s_cmp_lt_u32 s82, s66                                      // 00000000DAF0: BF0A4252
	s_cselect_b32 s21, s36, s60                                // 00000000DAF4: 85153C24
	s_mov_b64 exec, s[20:21]                                   // 00000000DAF8: BEFE0114
	buffer_store_dword v112, v6, s[8:11], 0 offen              // 00000000DAFC: E0701000 80027006
	buffer_store_dword v114, v6, s[8:11], 0 offen offset:128   // 00000000DB04: E0701080 80027206
	s_mov_b64 exec, s[36:37]                                   // 00000000DB0C: BEFE0124
	v_mov_b32_e32 v6, v79                                      // 00000000DB10: 7E0C034F
	s_mov_b64 s[60:61], 0                                      // 00000000DB14: BEBC0180
	v_readlane_b32 s82, v3, 30                                 // 00000000DB18: D2890052 00013D03
	s_and_b32 s82, s82, 0xffffff                               // 00000000DB20: 8652FF52 00FFFFFF
	s_cmp_lt_u32 s82, s66                                      // 00000000DB28: BF0A4252
	s_cselect_b32 s20, s36, s60                                // 00000000DB2C: 85143C24
	v_readlane_b32 s82, v3, 31                                 // 00000000DB30: D2890052 00013F03
	s_and_b32 s82, s82, 0xffffff                               // 00000000DB38: 8652FF52 00FFFFFF
	s_cmp_lt_u32 s82, s66                                      // 00000000DB40: BF0A4252
	s_cselect_b32 s21, s36, s60                                // 00000000DB44: 85153C24
	s_mov_b64 exec, s[20:21]                                   // 00000000DB48: BEFE0114
	buffer_store_dword v113, v6, s[8:11], 0 offen              // 00000000DB4C: E0701000 80027106
	buffer_store_dword v115, v6, s[8:11], 0 offen offset:128   // 00000000DB54: E0701080 80027306
	s_mov_b64 exec, s[36:37]                                   // 00000000DB5C: BEFE0124
	v_mov_b32_e32 v6, v80                                      // 00000000DB60: 7E0C0350
	s_mov_b64 s[60:61], 0                                      // 00000000DB64: BEBC0180
	v_readlane_b32 s82, v3, 32                                 // 00000000DB68: D2890052 00014103
	s_and_b32 s82, s82, 0xffffff                               // 00000000DB70: 8652FF52 00FFFFFF
	s_cmp_lt_u32 s82, s66                                      // 00000000DB78: BF0A4252
	s_cselect_b32 s20, s36, s60                                // 00000000DB7C: 85143C24
	v_readlane_b32 s82, v3, 33                                 // 00000000DB80: D2890052 00014303
	s_and_b32 s82, s82, 0xffffff                               // 00000000DB88: 8652FF52 00FFFFFF
	s_cmp_lt_u32 s82, s66                                      // 00000000DB90: BF0A4252
	s_cselect_b32 s21, s36, s60                                // 00000000DB94: 85153C24
	s_mov_b64 exec, s[20:21]                                   // 00000000DB98: BEFE0114
	buffer_store_dword v116, v6, s[8:11], 0 offen              // 00000000DB9C: E0701000 80027406
	buffer_store_dword v118, v6, s[8:11], 0 offen offset:128   // 00000000DBA4: E0701080 80027606
	s_mov_b64 exec, s[36:37]                                   // 00000000DBAC: BEFE0124
	v_mov_b32_e32 v6, v81                                      // 00000000DBB0: 7E0C0351
	s_mov_b64 s[60:61], 0                                      // 00000000DBB4: BEBC0180
	v_readlane_b32 s82, v3, 34                                 // 00000000DBB8: D2890052 00014503
	s_and_b32 s82, s82, 0xffffff                               // 00000000DBC0: 8652FF52 00FFFFFF
	s_cmp_lt_u32 s82, s66                                      // 00000000DBC8: BF0A4252
	s_cselect_b32 s20, s36, s60                                // 00000000DBCC: 85143C24
	v_readlane_b32 s82, v3, 35                                 // 00000000DBD0: D2890052 00014703
	s_and_b32 s82, s82, 0xffffff                               // 00000000DBD8: 8652FF52 00FFFFFF
	s_cmp_lt_u32 s82, s66                                      // 00000000DBE0: BF0A4252
	s_cselect_b32 s21, s36, s60                                // 00000000DBE4: 85153C24
	s_mov_b64 exec, s[20:21]                                   // 00000000DBE8: BEFE0114
	buffer_store_dword v117, v6, s[8:11], 0 offen              // 00000000DBEC: E0701000 80027506
	buffer_store_dword v119, v6, s[8:11], 0 offen offset:128   // 00000000DBF4: E0701080 80027706
	s_mov_b64 exec, s[36:37]                                   // 00000000DBFC: BEFE0124
	s_branch label_358A                                        // 00000000DC00: BF820906

000000000000dc04 <label_2C84>:
	ds_write_b64 v20, v[84:85]                                 // 00000000DC04: D89A0000 00005414
	ds_write_b64 v20, v[88:89] offset:4352                     // 00000000DC0C: D89A1100 00005814
	ds_write_b64 v20, v[92:93] offset:8704                     // 00000000DC14: D89A2200 00005C14
	ds_write_b64 v20, v[96:97] offset:13056                    // 00000000DC1C: D89A3300 00006014
	ds_write_b64 v20, v[100:101] offset:17408                  // 00000000DC24: D89A4400 00006414
	ds_write_b64 v20, v[104:105] offset:21760                  // 00000000DC2C: D89A5500 00006814
	ds_write_b64 v20, v[108:109] offset:26112                  // 00000000DC34: D89A6600 00006C14
	ds_write_b64 v20, v[112:113] offset:30464                  // 00000000DC3C: D89A7700 00007014
	ds_write_b64 v20, v[116:117] offset:34816                  // 00000000DC44: D89A8800 00007414
	ds_write_b64 v20, v[120:121] offset:2176                   // 00000000DC4C: D89A0880 00007814
	ds_write_b64 v20, v[124:125] offset:6528                   // 00000000DC54: D89A1980 00007C14
	ds_write_b64 v20, v[128:129] offset:10880                  // 00000000DC5C: D89A2A80 00008014
	ds_write_b64 v20, v[132:133] offset:15232                  // 00000000DC64: D89A3B80 00008414
	ds_write_b64 v20, v[136:137] offset:19584                  // 00000000DC6C: D89A4C80 00008814
	ds_write_b64 v20, v[140:141] offset:23936                  // 00000000DC74: D89A5D80 00008C14
	ds_write_b64 v20, v[144:145] offset:28288                  // 00000000DC7C: D89A6E80 00009014
	ds_write_b64 v20, v[148:149] offset:32640                  // 00000000DC84: D89A7F80 00009414
	ds_write_b64 v20, v[152:153] offset:36992                  // 00000000DC8C: D89A9080 00009814
	v_lshrrev_b32_e32 v4, 5, v0                                // 00000000DC94: 20080085
	v_xor_b32_e32 v5, 1, v4                                    // 00000000DC98: 2A0A0881
	s_mul_i32 s60, s65, 2                                      // 00000000DC9C: 923C8241
	s_cmp_eq_u32 s88, 0                                        // 00000000DCA0: BF068058
	s_cselect_b32 s61, 1, 4                                    // 00000000DCA4: 853D8481
	s_mul_i32 s60, s61, s60                                    // 00000000DCA8: 923C3C3D
	v_readlane_b32 s82, v3, 0                                  // 00000000DCAC: D2890052 00010103
	s_lshr_b32 s61, s82, 24                                    // 00000000DCB4: 8F3D9852
	s_and_b32 s82, s82, 0xffffff                               // 00000000DCB8: 8652FF52 00FFFFFF
	s_mul_i32 s82, s82, s71                                    // 00000000DCC0: 92524752
	s_mul_i32 s61, s60, s61                                    // 00000000DCC4: 923D3D3C
	s_add_u32 s82, s82, s61                                    // 00000000DCC8: 80523D52
	v_mul_lo_u32 v6, v5, s82                                   // 00000000DCCC: D2850006 0000A505
	v_readlane_b32 s82, v3, 1                                  // 00000000DCD4: D2890052 00010303
	s_lshr_b32 s61, s82, 24                                    // 00000000DCDC: 8F3D9852
	s_and_b32 s82, s82, 0xffffff                               // 00000000DCE0: 8652FF52 00FFFFFF
	s_mul_i32 s82, s82, s71                                    // 00000000DCE8: 92524752
	s_mul_i32 s61, s60, s61                                    // 00000000DCEC: 923D3D3C
	s_add_u32 s82, s82, s61                                    // 00000000DCF0: 80523D52
	v_mul_lo_u32 v7, v4, s82                                   // 00000000DCF4: D2850007 0000A504
	v_add_u32_e32 v64, v6, v7                                  // 00000000DCFC: 68800F06
	v_readlane_b32 s82, v3, 2                                  // 00000000DD00: D2890052 00010503
	s_lshr_b32 s61, s82, 24                                    // 00000000DD08: 8F3D9852
	s_and_b32 s82, s82, 0xffffff                               // 00000000DD0C: 8652FF52 00FFFFFF
	s_mul_i32 s82, s82, s71                                    // 00000000DD14: 92524752
	s_mul_i32 s61, s60, s61                                    // 00000000DD18: 923D3D3C
	s_add_u32 s82, s82, s61                                    // 00000000DD1C: 80523D52
	v_mul_lo_u32 v6, v5, s82                                   // 00000000DD20: D2850006 0000A505
	v_readlane_b32 s82, v3, 3                                  // 00000000DD28: D2890052 00010703
	s_lshr_b32 s61, s82, 24                                    // 00000000DD30: 8F3D9852
	s_and_b32 s82, s82, 0xffffff                               // 00000000DD34: 8652FF52 00FFFFFF
	s_mul_i32 s82, s82, s71                                    // 00000000DD3C: 92524752
	s_mul_i32 s61, s60, s61                                    // 00000000DD40: 923D3D3C
	s_add_u32 s82, s82, s61                                    // 00000000DD44: 80523D52
	v_mul_lo_u32 v7, v4, s82                                   // 00000000DD48: D2850007 0000A504
	v_add_u32_e32 v65, v6, v7                                  // 00000000DD50: 68820F06
	v_readlane_b32 s82, v3, 4                                  // 00000000DD54: D2890052 00010903
	s_lshr_b32 s61, s82, 24                                    // 00000000DD5C: 8F3D9852
	s_and_b32 s82, s82, 0xffffff                               // 00000000DD60: 8652FF52 00FFFFFF
	s_mul_i32 s82, s82, s71                                    // 00000000DD68: 92524752
	s_mul_i32 s61, s60, s61                                    // 00000000DD6C: 923D3D3C
	s_add_u32 s82, s82, s61                                    // 00000000DD70: 80523D52
	v_mul_lo_u32 v6, v5, s82                                   // 00000000DD74: D2850006 0000A505
	v_readlane_b32 s82, v3, 5                                  // 00000000DD7C: D2890052 00010B03
	s_lshr_b32 s61, s82, 24                                    // 00000000DD84: 8F3D9852
	s_and_b32 s82, s82, 0xffffff                               // 00000000DD88: 8652FF52 00FFFFFF
	s_mul_i32 s82, s82, s71                                    // 00000000DD90: 92524752
	s_mul_i32 s61, s60, s61                                    // 00000000DD94: 923D3D3C
	s_add_u32 s82, s82, s61                                    // 00000000DD98: 80523D52
	v_mul_lo_u32 v7, v4, s82                                   // 00000000DD9C: D2850007 0000A504
	v_add_u32_e32 v66, v6, v7                                  // 00000000DDA4: 68840F06
	v_readlane_b32 s82, v3, 6                                  // 00000000DDA8: D2890052 00010D03
	s_lshr_b32 s61, s82, 24                                    // 00000000DDB0: 8F3D9852
	s_and_b32 s82, s82, 0xffffff                               // 00000000DDB4: 8652FF52 00FFFFFF
	s_mul_i32 s82, s82, s71                                    // 00000000DDBC: 92524752
	s_mul_i32 s61, s60, s61                                    // 00000000DDC0: 923D3D3C
	s_add_u32 s82, s82, s61                                    // 00000000DDC4: 80523D52
	v_mul_lo_u32 v6, v5, s82                                   // 00000000DDC8: D2850006 0000A505
	v_readlane_b32 s82, v3, 7                                  // 00000000DDD0: D2890052 00010F03
	s_lshr_b32 s61, s82, 24                                    // 00000000DDD8: 8F3D9852
	s_and_b32 s82, s82, 0xffffff                               // 00000000DDDC: 8652FF52 00FFFFFF
	s_mul_i32 s82, s82, s71                                    // 00000000DDE4: 92524752
	s_mul_i32 s61, s60, s61                                    // 00000000DDE8: 923D3D3C
	s_add_u32 s82, s82, s61                                    // 00000000DDEC: 80523D52
	v_mul_lo_u32 v7, v4, s82                                   // 00000000DDF0: D2850007 0000A504
	v_add_u32_e32 v67, v6, v7                                  // 00000000DDF8: 68860F06
	v_readlane_b32 s82, v3, 8                                  // 00000000DDFC: D2890052 00011103
	s_lshr_b32 s61, s82, 24                                    // 00000000DE04: 8F3D9852
	s_and_b32 s82, s82, 0xffffff                               // 00000000DE08: 8652FF52 00FFFFFF
	s_mul_i32 s82, s82, s71                                    // 00000000DE10: 92524752
	s_mul_i32 s61, s60, s61                                    // 00000000DE14: 923D3D3C
	s_add_u32 s82, s82, s61                                    // 00000000DE18: 80523D52
	v_mul_lo_u32 v6, v5, s82                                   // 00000000DE1C: D2850006 0000A505
	v_readlane_b32 s82, v3, 9                                  // 00000000DE24: D2890052 00011303
	s_lshr_b32 s61, s82, 24                                    // 00000000DE2C: 8F3D9852
	s_and_b32 s82, s82, 0xffffff                               // 00000000DE30: 8652FF52 00FFFFFF
	s_mul_i32 s82, s82, s71                                    // 00000000DE38: 92524752
	s_mul_i32 s61, s60, s61                                    // 00000000DE3C: 923D3D3C
	s_add_u32 s82, s82, s61                                    // 00000000DE40: 80523D52
	v_mul_lo_u32 v7, v4, s82                                   // 00000000DE44: D2850007 0000A504
	v_add_u32_e32 v68, v6, v7                                  // 00000000DE4C: 68880F06
	v_readlane_b32 s82, v3, 10                                 // 00000000DE50: D2890052 00011503
	s_lshr_b32 s61, s82, 24                                    // 00000000DE58: 8F3D9852
	s_and_b32 s82, s82, 0xffffff                               // 00000000DE5C: 8652FF52 00FFFFFF
	s_mul_i32 s82, s82, s71                                    // 00000000DE64: 92524752
	s_mul_i32 s61, s60, s61                                    // 00000000DE68: 923D3D3C
	s_add_u32 s82, s82, s61                                    // 00000000DE6C: 80523D52
	v_mul_lo_u32 v6, v5, s82                                   // 00000000DE70: D2850006 0000A505
	v_readlane_b32 s82, v3, 11                                 // 00000000DE78: D2890052 00011703
	s_lshr_b32 s61, s82, 24                                    // 00000000DE80: 8F3D9852
	s_and_b32 s82, s82, 0xffffff                               // 00000000DE84: 8652FF52 00FFFFFF
	s_mul_i32 s82, s82, s71                                    // 00000000DE8C: 92524752
	s_mul_i32 s61, s60, s61                                    // 00000000DE90: 923D3D3C
	s_add_u32 s82, s82, s61                                    // 00000000DE94: 80523D52
	v_mul_lo_u32 v7, v4, s82                                   // 00000000DE98: D2850007 0000A504
	v_add_u32_e32 v69, v6, v7                                  // 00000000DEA0: 688A0F06
	v_readlane_b32 s82, v3, 12                                 // 00000000DEA4: D2890052 00011903
	s_lshr_b32 s61, s82, 24                                    // 00000000DEAC: 8F3D9852
	s_and_b32 s82, s82, 0xffffff                               // 00000000DEB0: 8652FF52 00FFFFFF
	s_mul_i32 s82, s82, s71                                    // 00000000DEB8: 92524752
	s_mul_i32 s61, s60, s61                                    // 00000000DEBC: 923D3D3C
	s_add_u32 s82, s82, s61                                    // 00000000DEC0: 80523D52
	v_mul_lo_u32 v6, v5, s82                                   // 00000000DEC4: D2850006 0000A505
	v_readlane_b32 s82, v3, 13                                 // 00000000DECC: D2890052 00011B03
	s_lshr_b32 s61, s82, 24                                    // 00000000DED4: 8F3D9852
	s_and_b32 s82, s82, 0xffffff                               // 00000000DED8: 8652FF52 00FFFFFF
	s_mul_i32 s82, s82, s71                                    // 00000000DEE0: 92524752
	s_mul_i32 s61, s60, s61                                    // 00000000DEE4: 923D3D3C
	s_add_u32 s82, s82, s61                                    // 00000000DEE8: 80523D52
	v_mul_lo_u32 v7, v4, s82                                   // 00000000DEEC: D2850007 0000A504
	v_add_u32_e32 v70, v6, v7                                  // 00000000DEF4: 688C0F06
	v_readlane_b32 s82, v3, 14                                 // 00000000DEF8: D2890052 00011D03
	s_lshr_b32 s61, s82, 24                                    // 00000000DF00: 8F3D9852
	s_and_b32 s82, s82, 0xffffff                               // 00000000DF04: 8652FF52 00FFFFFF
	s_mul_i32 s82, s82, s71                                    // 00000000DF0C: 92524752
	s_mul_i32 s61, s60, s61                                    // 00000000DF10: 923D3D3C
	s_add_u32 s82, s82, s61                                    // 00000000DF14: 80523D52
	v_mul_lo_u32 v6, v5, s82                                   // 00000000DF18: D2850006 0000A505
	v_readlane_b32 s82, v3, 15                                 // 00000000DF20: D2890052 00011F03
	s_lshr_b32 s61, s82, 24                                    // 00000000DF28: 8F3D9852
	s_and_b32 s82, s82, 0xffffff                               // 00000000DF2C: 8652FF52 00FFFFFF
	s_mul_i32 s82, s82, s71                                    // 00000000DF34: 92524752
	s_mul_i32 s61, s60, s61                                    // 00000000DF38: 923D3D3C
	s_add_u32 s82, s82, s61                                    // 00000000DF3C: 80523D52
	v_mul_lo_u32 v7, v4, s82                                   // 00000000DF40: D2850007 0000A504
	v_add_u32_e32 v71, v6, v7                                  // 00000000DF48: 688E0F06
	v_readlane_b32 s82, v3, 16                                 // 00000000DF4C: D2890052 00012103
	s_lshr_b32 s61, s82, 24                                    // 00000000DF54: 8F3D9852
	s_and_b32 s82, s82, 0xffffff                               // 00000000DF58: 8652FF52 00FFFFFF
	s_mul_i32 s82, s82, s71                                    // 00000000DF60: 92524752
	s_mul_i32 s61, s60, s61                                    // 00000000DF64: 923D3D3C
	s_add_u32 s82, s82, s61                                    // 00000000DF68: 80523D52
	v_mul_lo_u32 v6, v5, s82                                   // 00000000DF6C: D2850006 0000A505
	v_readlane_b32 s82, v3, 17                                 // 00000000DF74: D2890052 00012303
	s_lshr_b32 s61, s82, 24                                    // 00000000DF7C: 8F3D9852
	s_and_b32 s82, s82, 0xffffff                               // 00000000DF80: 8652FF52 00FFFFFF
	s_mul_i32 s82, s82, s71                                    // 00000000DF88: 92524752
	s_mul_i32 s61, s60, s61                                    // 00000000DF8C: 923D3D3C
	s_add_u32 s82, s82, s61                                    // 00000000DF90: 80523D52
	v_mul_lo_u32 v7, v4, s82                                   // 00000000DF94: D2850007 0000A504
	v_add_u32_e32 v72, v6, v7                                  // 00000000DF9C: 68900F06
	v_readlane_b32 s82, v3, 18                                 // 00000000DFA0: D2890052 00012503
	s_lshr_b32 s61, s82, 24                                    // 00000000DFA8: 8F3D9852
	s_and_b32 s82, s82, 0xffffff                               // 00000000DFAC: 8652FF52 00FFFFFF
	s_mul_i32 s82, s82, s71                                    // 00000000DFB4: 92524752
	s_mul_i32 s61, s60, s61                                    // 00000000DFB8: 923D3D3C
	s_add_u32 s82, s82, s61                                    // 00000000DFBC: 80523D52
	v_mul_lo_u32 v6, v5, s82                                   // 00000000DFC0: D2850006 0000A505
	v_readlane_b32 s82, v3, 19                                 // 00000000DFC8: D2890052 00012703
	s_lshr_b32 s61, s82, 24                                    // 00000000DFD0: 8F3D9852
	s_and_b32 s82, s82, 0xffffff                               // 00000000DFD4: 8652FF52 00FFFFFF
	s_mul_i32 s82, s82, s71                                    // 00000000DFDC: 92524752
	s_mul_i32 s61, s60, s61                                    // 00000000DFE0: 923D3D3C
	s_add_u32 s82, s82, s61                                    // 00000000DFE4: 80523D52
	v_mul_lo_u32 v7, v4, s82                                   // 00000000DFE8: D2850007 0000A504
	v_add_u32_e32 v73, v6, v7                                  // 00000000DFF0: 68920F06
	v_readlane_b32 s82, v3, 20                                 // 00000000DFF4: D2890052 00012903
	s_lshr_b32 s61, s82, 24                                    // 00000000DFFC: 8F3D9852
	s_and_b32 s82, s82, 0xffffff                               // 00000000E000: 8652FF52 00FFFFFF
	s_mul_i32 s82, s82, s71                                    // 00000000E008: 92524752
	s_mul_i32 s61, s60, s61                                    // 00000000E00C: 923D3D3C
	s_add_u32 s82, s82, s61                                    // 00000000E010: 80523D52
	v_mul_lo_u32 v6, v5, s82                                   // 00000000E014: D2850006 0000A505
	v_readlane_b32 s82, v3, 21                                 // 00000000E01C: D2890052 00012B03
	s_lshr_b32 s61, s82, 24                                    // 00000000E024: 8F3D9852
	s_and_b32 s82, s82, 0xffffff                               // 00000000E028: 8652FF52 00FFFFFF
	s_mul_i32 s82, s82, s71                                    // 00000000E030: 92524752
	s_mul_i32 s61, s60, s61                                    // 00000000E034: 923D3D3C
	s_add_u32 s82, s82, s61                                    // 00000000E038: 80523D52
	v_mul_lo_u32 v7, v4, s82                                   // 00000000E03C: D2850007 0000A504
	v_add_u32_e32 v74, v6, v7                                  // 00000000E044: 68940F06
	v_readlane_b32 s82, v3, 22                                 // 00000000E048: D2890052 00012D03
	s_lshr_b32 s61, s82, 24                                    // 00000000E050: 8F3D9852
	s_and_b32 s82, s82, 0xffffff                               // 00000000E054: 8652FF52 00FFFFFF
	s_mul_i32 s82, s82, s71                                    // 00000000E05C: 92524752
	s_mul_i32 s61, s60, s61                                    // 00000000E060: 923D3D3C
	s_add_u32 s82, s82, s61                                    // 00000000E064: 80523D52
	v_mul_lo_u32 v6, v5, s82                                   // 00000000E068: D2850006 0000A505
	v_readlane_b32 s82, v3, 23                                 // 00000000E070: D2890052 00012F03
	s_lshr_b32 s61, s82, 24                                    // 00000000E078: 8F3D9852
	s_and_b32 s82, s82, 0xffffff                               // 00000000E07C: 8652FF52 00FFFFFF
	s_mul_i32 s82, s82, s71                                    // 00000000E084: 92524752
	s_mul_i32 s61, s60, s61                                    // 00000000E088: 923D3D3C
	s_add_u32 s82, s82, s61                                    // 00000000E08C: 80523D52
	v_mul_lo_u32 v7, v4, s82                                   // 00000000E090: D2850007 0000A504
	v_add_u32_e32 v75, v6, v7                                  // 00000000E098: 68960F06
	v_readlane_b32 s82, v3, 24                                 // 00000000E09C: D2890052 00013103
	s_lshr_b32 s61, s82, 24                                    // 00000000E0A4: 8F3D9852
	s_and_b32 s82, s82, 0xffffff                               // 00000000E0A8: 8652FF52 00FFFFFF
	s_mul_i32 s82, s82, s71                                    // 00000000E0B0: 92524752
	s_mul_i32 s61, s60, s61                                    // 00000000E0B4: 923D3D3C
	s_add_u32 s82, s82, s61                                    // 00000000E0B8: 80523D52
	v_mul_lo_u32 v6, v5, s82                                   // 00000000E0BC: D2850006 0000A505
	v_readlane_b32 s82, v3, 25                                 // 00000000E0C4: D2890052 00013303
	s_lshr_b32 s61, s82, 24                                    // 00000000E0CC: 8F3D9852
	s_and_b32 s82, s82, 0xffffff                               // 00000000E0D0: 8652FF52 00FFFFFF
	s_mul_i32 s82, s82, s71                                    // 00000000E0D8: 92524752
	s_mul_i32 s61, s60, s61                                    // 00000000E0DC: 923D3D3C
	s_add_u32 s82, s82, s61                                    // 00000000E0E0: 80523D52
	v_mul_lo_u32 v7, v4, s82                                   // 00000000E0E4: D2850007 0000A504
	v_add_u32_e32 v76, v6, v7                                  // 00000000E0EC: 68980F06
	v_readlane_b32 s82, v3, 26                                 // 00000000E0F0: D2890052 00013503
	s_lshr_b32 s61, s82, 24                                    // 00000000E0F8: 8F3D9852
	s_and_b32 s82, s82, 0xffffff                               // 00000000E0FC: 8652FF52 00FFFFFF
	s_mul_i32 s82, s82, s71                                    // 00000000E104: 92524752
	s_mul_i32 s61, s60, s61                                    // 00000000E108: 923D3D3C
	s_add_u32 s82, s82, s61                                    // 00000000E10C: 80523D52
	v_mul_lo_u32 v6, v5, s82                                   // 00000000E110: D2850006 0000A505
	v_readlane_b32 s82, v3, 27                                 // 00000000E118: D2890052 00013703
	s_lshr_b32 s61, s82, 24                                    // 00000000E120: 8F3D9852
	s_and_b32 s82, s82, 0xffffff                               // 00000000E124: 8652FF52 00FFFFFF
	s_mul_i32 s82, s82, s71                                    // 00000000E12C: 92524752
	s_mul_i32 s61, s60, s61                                    // 00000000E130: 923D3D3C
	s_add_u32 s82, s82, s61                                    // 00000000E134: 80523D52
	v_mul_lo_u32 v7, v4, s82                                   // 00000000E138: D2850007 0000A504
	v_add_u32_e32 v77, v6, v7                                  // 00000000E140: 689A0F06
	v_readlane_b32 s82, v3, 28                                 // 00000000E144: D2890052 00013903
	s_lshr_b32 s61, s82, 24                                    // 00000000E14C: 8F3D9852
	s_and_b32 s82, s82, 0xffffff                               // 00000000E150: 8652FF52 00FFFFFF
	s_mul_i32 s82, s82, s71                                    // 00000000E158: 92524752
	s_mul_i32 s61, s60, s61                                    // 00000000E15C: 923D3D3C
	s_add_u32 s82, s82, s61                                    // 00000000E160: 80523D52
	v_mul_lo_u32 v6, v5, s82                                   // 00000000E164: D2850006 0000A505
	v_readlane_b32 s82, v3, 29                                 // 00000000E16C: D2890052 00013B03
	s_lshr_b32 s61, s82, 24                                    // 00000000E174: 8F3D9852
	s_and_b32 s82, s82, 0xffffff                               // 00000000E178: 8652FF52 00FFFFFF
	s_mul_i32 s82, s82, s71                                    // 00000000E180: 92524752
	s_mul_i32 s61, s60, s61                                    // 00000000E184: 923D3D3C
	s_add_u32 s82, s82, s61                                    // 00000000E188: 80523D52
	v_mul_lo_u32 v7, v4, s82                                   // 00000000E18C: D2850007 0000A504
	v_add_u32_e32 v78, v6, v7                                  // 00000000E194: 689C0F06
	v_readlane_b32 s82, v3, 30                                 // 00000000E198: D2890052 00013D03
	s_lshr_b32 s61, s82, 24                                    // 00000000E1A0: 8F3D9852
	s_and_b32 s82, s82, 0xffffff                               // 00000000E1A4: 8652FF52 00FFFFFF
	s_mul_i32 s82, s82, s71                                    // 00000000E1AC: 92524752
	s_mul_i32 s61, s60, s61                                    // 00000000E1B0: 923D3D3C
	s_add_u32 s82, s82, s61                                    // 00000000E1B4: 80523D52
	v_mul_lo_u32 v6, v5, s82                                   // 00000000E1B8: D2850006 0000A505
	v_readlane_b32 s82, v3, 31                                 // 00000000E1C0: D2890052 00013F03
	s_lshr_b32 s61, s82, 24                                    // 00000000E1C8: 8F3D9852
	s_and_b32 s82, s82, 0xffffff                               // 00000000E1CC: 8652FF52 00FFFFFF
	s_mul_i32 s82, s82, s71                                    // 00000000E1D4: 92524752
	s_mul_i32 s61, s60, s61                                    // 00000000E1D8: 923D3D3C
	s_add_u32 s82, s82, s61                                    // 00000000E1DC: 80523D52
	v_mul_lo_u32 v7, v4, s82                                   // 00000000E1E0: D2850007 0000A504
	v_add_u32_e32 v79, v6, v7                                  // 00000000E1E8: 689E0F06
	v_readlane_b32 s82, v3, 32                                 // 00000000E1EC: D2890052 00014103
	s_lshr_b32 s61, s82, 24                                    // 00000000E1F4: 8F3D9852
	s_and_b32 s82, s82, 0xffffff                               // 00000000E1F8: 8652FF52 00FFFFFF
	s_mul_i32 s82, s82, s71                                    // 00000000E200: 92524752
	s_mul_i32 s61, s60, s61                                    // 00000000E204: 923D3D3C
	s_add_u32 s82, s82, s61                                    // 00000000E208: 80523D52
	v_mul_lo_u32 v6, v5, s82                                   // 00000000E20C: D2850006 0000A505
	v_readlane_b32 s82, v3, 33                                 // 00000000E214: D2890052 00014303
	s_lshr_b32 s61, s82, 24                                    // 00000000E21C: 8F3D9852
	s_and_b32 s82, s82, 0xffffff                               // 00000000E220: 8652FF52 00FFFFFF
	s_mul_i32 s82, s82, s71                                    // 00000000E228: 92524752
	s_mul_i32 s61, s60, s61                                    // 00000000E22C: 923D3D3C
	s_add_u32 s82, s82, s61                                    // 00000000E230: 80523D52
	v_mul_lo_u32 v7, v4, s82                                   // 00000000E234: D2850007 0000A504
	v_add_u32_e32 v80, v6, v7                                  // 00000000E23C: 68A00F06
	v_readlane_b32 s82, v3, 34                                 // 00000000E240: D2890052 00014503
	s_lshr_b32 s61, s82, 24                                    // 00000000E248: 8F3D9852
	s_and_b32 s82, s82, 0xffffff                               // 00000000E24C: 8652FF52 00FFFFFF
	s_mul_i32 s82, s82, s71                                    // 00000000E254: 92524752
	s_mul_i32 s61, s60, s61                                    // 00000000E258: 923D3D3C
	s_add_u32 s82, s82, s61                                    // 00000000E25C: 80523D52
	v_mul_lo_u32 v6, v5, s82                                   // 00000000E260: D2850006 0000A505
	v_readlane_b32 s82, v3, 35                                 // 00000000E268: D2890052 00014703
	s_lshr_b32 s61, s82, 24                                    // 00000000E270: 8F3D9852
	s_and_b32 s82, s82, 0xffffff                               // 00000000E274: 8652FF52 00FFFFFF
	s_mul_i32 s82, s82, s71                                    // 00000000E27C: 92524752
	s_mul_i32 s61, s60, s61                                    // 00000000E280: 923D3D3C
	s_add_u32 s82, s82, s61                                    // 00000000E284: 80523D52
	v_mul_lo_u32 v7, v4, s82                                   // 00000000E288: D2850007 0000A504
	v_add_u32_e32 v81, v6, v7                                  // 00000000E290: 68A20F06
	v_and_b32_e32 v4, 31, v0                                   // 00000000E294: 2608009F
	v_lshrrev_b32_e32 v4, 1, v4                                // 00000000E298: 20080881
	s_cmp_eq_u32 s88, 0                                        // 00000000E29C: BF068058
	s_cselect_b32 s61, 2, 4                                    // 00000000E2A0: 853D8482
	v_mul_lo_u32 v4, v4, s61                                   // 00000000E2A4: D2850004 00007B04
	v_and_b32_e64 v5, v0, 1                                    // 00000000E2AC: D1130005 00010300
	v_add_u32_e32 v4, v4, v5                                   // 00000000E2B4: 68080B04
	v_lshlrev_b32_e32 v4, 2, v4                                // 00000000E2B8: 24080882
	v_add_u32_e32 v64, v64, v4                                 // 00000000E2BC: 68800940
	v_add_u32_e32 v65, v65, v4                                 // 00000000E2C0: 68820941
	v_add_u32_e32 v66, v66, v4                                 // 00000000E2C4: 68840942
	v_add_u32_e32 v67, v67, v4                                 // 00000000E2C8: 68860943
	v_add_u32_e32 v68, v68, v4                                 // 00000000E2CC: 68880944
	v_add_u32_e32 v69, v69, v4                                 // 00000000E2D0: 688A0945
	v_add_u32_e32 v70, v70, v4                                 // 00000000E2D4: 688C0946
	v_add_u32_e32 v71, v71, v4                                 // 00000000E2D8: 688E0947
	v_add_u32_e32 v72, v72, v4                                 // 00000000E2DC: 68900948
	v_add_u32_e32 v73, v73, v4                                 // 00000000E2E0: 68920949
	v_add_u32_e32 v74, v74, v4                                 // 00000000E2E4: 6894094A
	v_add_u32_e32 v75, v75, v4                                 // 00000000E2E8: 6896094B
	v_add_u32_e32 v76, v76, v4                                 // 00000000E2EC: 6898094C
	v_add_u32_e32 v77, v77, v4                                 // 00000000E2F0: 689A094D
	v_add_u32_e32 v78, v78, v4                                 // 00000000E2F4: 689C094E
	v_add_u32_e32 v79, v79, v4                                 // 00000000E2F8: 689E094F
	v_add_u32_e32 v80, v80, v4                                 // 00000000E2FC: 68A00950
	v_add_u32_e32 v81, v81, v4                                 // 00000000E300: 68A20951
	s_waitcnt lgkmcnt(0)                                       // 00000000E304: BF8CC07F
	s_barrier                                                  // 00000000E308: BF8A0000
	ds_read_b32 v84, v21                                       // 00000000E30C: D86C0000 54000015
	ds_read_b32 v85, v21 offset:64                             // 00000000E314: D86C0040 55000015
	ds_read_b32 v88, v21 offset:2176                           // 00000000E31C: D86C0880 58000015
	ds_read_b32 v89, v21 offset:2240                           // 00000000E324: D86C08C0 59000015
	ds_read_b32 v92, v21 offset:4352                           // 00000000E32C: D86C1100 5C000015
	ds_read_b32 v93, v21 offset:4416                           // 00000000E334: D86C1140 5D000015
	ds_read_b32 v96, v21 offset:6528                           // 00000000E33C: D86C1980 60000015
	ds_read_b32 v97, v21 offset:6592                           // 00000000E344: D86C19C0 61000015
	ds_read_b32 v100, v21 offset:8704                          // 00000000E34C: D86C2200 64000015
	ds_read_b32 v101, v21 offset:8768                          // 00000000E354: D86C2240 65000015
	ds_read_b32 v104, v21 offset:10880                         // 00000000E35C: D86C2A80 68000015
	ds_read_b32 v105, v21 offset:10944                         // 00000000E364: D86C2AC0 69000015
	ds_read_b32 v108, v21 offset:13056                         // 00000000E36C: D86C3300 6C000015
	ds_read_b32 v109, v21 offset:13120                         // 00000000E374: D86C3340 6D000015
	ds_read_b32 v112, v21 offset:15232                         // 00000000E37C: D86C3B80 70000015
	ds_read_b32 v113, v21 offset:15296                         // 00000000E384: D86C3BC0 71000015
	ds_read_b32 v116, v21 offset:17408                         // 00000000E38C: D86C4400 74000015
	ds_read_b32 v117, v21 offset:17472                         // 00000000E394: D86C4440 75000015
	ds_read_b32 v120, v21 offset:19584                         // 00000000E39C: D86C4C80 78000015
	ds_read_b32 v121, v21 offset:19648                         // 00000000E3A4: D86C4CC0 79000015
	ds_read_b32 v124, v21 offset:21760                         // 00000000E3AC: D86C5500 7C000015
	ds_read_b32 v125, v21 offset:21824                         // 00000000E3B4: D86C5540 7D000015
	ds_read_b32 v128, v21 offset:23936                         // 00000000E3BC: D86C5D80 80000015
	ds_read_b32 v129, v21 offset:24000                         // 00000000E3C4: D86C5DC0 81000015
	ds_read_b32 v132, v21 offset:26112                         // 00000000E3CC: D86C6600 84000015
	ds_read_b32 v133, v21 offset:26176                         // 00000000E3D4: D86C6640 85000015
	ds_read_b32 v136, v21 offset:28288                         // 00000000E3DC: D86C6E80 88000015
	ds_read_b32 v137, v21 offset:28352                         // 00000000E3E4: D86C6EC0 89000015
	ds_read_b32 v140, v21 offset:30464                         // 00000000E3EC: D86C7700 8C000015
	ds_read_b32 v141, v21 offset:30528                         // 00000000E3F4: D86C7740 8D000015
	ds_read_b32 v144, v21 offset:32640                         // 00000000E3FC: D86C7F80 90000015
	ds_read_b32 v145, v21 offset:32704                         // 00000000E404: D86C7FC0 91000015
	ds_read_b32 v148, v21 offset:34816                         // 00000000E40C: D86C8800 94000015
	ds_read_b32 v149, v21 offset:34880                         // 00000000E414: D86C8840 95000015
	ds_read_b32 v152, v21 offset:36992                         // 00000000E41C: D86C9080 98000015
	ds_read_b32 v153, v21 offset:37056                         // 00000000E424: D86C90C0 99000015
	s_waitcnt lgkmcnt(0)                                       // 00000000E42C: BF8CC07F
	s_mov_b32 s36, -1                                          // 00000000E430: BEA400C1
	s_mov_b32 s37, -1                                          // 00000000E434: BEA500C1
	v_mov_b32_e32 v7, 0                                        // 00000000E438: 7E0E0280
	s_mov_b64 exec, s[36:37]                                   // 00000000E43C: BEFE0124
	v_mov_b32_e32 v6, v64                                      // 00000000E440: 7E0C0340
	s_mov_b64 s[60:61], 0                                      // 00000000E444: BEBC0180
	v_readlane_b32 s82, v3, 0                                  // 00000000E448: D2890052 00010103
	s_and_b32 s82, s82, 0xffffff                               // 00000000E450: 8652FF52 00FFFFFF
	s_cmp_lt_u32 s82, s66                                      // 00000000E458: BF0A4252
	s_cselect_b32 s20, s36, s60                                // 00000000E45C: 85143C24
	v_readlane_b32 s82, v3, 1                                  // 00000000E460: D2890052 00010303
	s_and_b32 s82, s82, 0xffffff                               // 00000000E468: 8652FF52 00FFFFFF
	s_cmp_lt_u32 s82, s66                                      // 00000000E470: BF0A4252
	s_cselect_b32 s21, s36, s60                                // 00000000E474: 85153C24
	s_mov_b64 exec, s[20:21]                                   // 00000000E478: BEFE0114
	global_atomic_add_f32 v6, v84, s[8:9]                      // 00000000E47C: DD348000 00085406
	global_atomic_add_f32 v6, v88, s[8:9] offset:256           // 00000000E484: DD348100 00085806
	s_mov_b64 exec, s[36:37]                                   // 00000000E48C: BEFE0124
	v_mov_b32_e32 v6, v65                                      // 00000000E490: 7E0C0341
	s_mov_b64 s[60:61], 0                                      // 00000000E494: BEBC0180
	v_readlane_b32 s82, v3, 2                                  // 00000000E498: D2890052 00010503
	s_and_b32 s82, s82, 0xffffff                               // 00000000E4A0: 8652FF52 00FFFFFF
	s_cmp_lt_u32 s82, s66                                      // 00000000E4A8: BF0A4252
	s_cselect_b32 s20, s36, s60                                // 00000000E4AC: 85143C24
	v_readlane_b32 s82, v3, 3                                  // 00000000E4B0: D2890052 00010703
	s_and_b32 s82, s82, 0xffffff                               // 00000000E4B8: 8652FF52 00FFFFFF
	s_cmp_lt_u32 s82, s66                                      // 00000000E4C0: BF0A4252
	s_cselect_b32 s21, s36, s60                                // 00000000E4C4: 85153C24
	s_mov_b64 exec, s[20:21]                                   // 00000000E4C8: BEFE0114
	global_atomic_add_f32 v6, v85, s[8:9]                      // 00000000E4CC: DD348000 00085506
	global_atomic_add_f32 v6, v89, s[8:9] offset:256           // 00000000E4D4: DD348100 00085906
	s_mov_b64 exec, s[36:37]                                   // 00000000E4DC: BEFE0124
	v_mov_b32_e32 v6, v66                                      // 00000000E4E0: 7E0C0342
	s_mov_b64 s[60:61], 0                                      // 00000000E4E4: BEBC0180
	v_readlane_b32 s82, v3, 4                                  // 00000000E4E8: D2890052 00010903
	s_and_b32 s82, s82, 0xffffff                               // 00000000E4F0: 8652FF52 00FFFFFF
	s_cmp_lt_u32 s82, s66                                      // 00000000E4F8: BF0A4252
	s_cselect_b32 s20, s36, s60                                // 00000000E4FC: 85143C24
	v_readlane_b32 s82, v3, 5                                  // 00000000E500: D2890052 00010B03
	s_and_b32 s82, s82, 0xffffff                               // 00000000E508: 8652FF52 00FFFFFF
	s_cmp_lt_u32 s82, s66                                      // 00000000E510: BF0A4252
	s_cselect_b32 s21, s36, s60                                // 00000000E514: 85153C24
	s_mov_b64 exec, s[20:21]                                   // 00000000E518: BEFE0114
	global_atomic_add_f32 v6, v92, s[8:9]                      // 00000000E51C: DD348000 00085C06
	global_atomic_add_f32 v6, v96, s[8:9] offset:256           // 00000000E524: DD348100 00086006
	s_mov_b64 exec, s[36:37]                                   // 00000000E52C: BEFE0124
	v_mov_b32_e32 v6, v67                                      // 00000000E530: 7E0C0343
	s_mov_b64 s[60:61], 0                                      // 00000000E534: BEBC0180
	v_readlane_b32 s82, v3, 6                                  // 00000000E538: D2890052 00010D03
	s_and_b32 s82, s82, 0xffffff                               // 00000000E540: 8652FF52 00FFFFFF
	s_cmp_lt_u32 s82, s66                                      // 00000000E548: BF0A4252
	s_cselect_b32 s20, s36, s60                                // 00000000E54C: 85143C24
	v_readlane_b32 s82, v3, 7                                  // 00000000E550: D2890052 00010F03
	s_and_b32 s82, s82, 0xffffff                               // 00000000E558: 8652FF52 00FFFFFF
	s_cmp_lt_u32 s82, s66                                      // 00000000E560: BF0A4252
	s_cselect_b32 s21, s36, s60                                // 00000000E564: 85153C24
	s_mov_b64 exec, s[20:21]                                   // 00000000E568: BEFE0114
	global_atomic_add_f32 v6, v93, s[8:9]                      // 00000000E56C: DD348000 00085D06
	global_atomic_add_f32 v6, v97, s[8:9] offset:256           // 00000000E574: DD348100 00086106
	s_mov_b64 exec, s[36:37]                                   // 00000000E57C: BEFE0124
	v_mov_b32_e32 v6, v68                                      // 00000000E580: 7E0C0344
	s_mov_b64 s[60:61], 0                                      // 00000000E584: BEBC0180
	v_readlane_b32 s82, v3, 8                                  // 00000000E588: D2890052 00011103
	s_and_b32 s82, s82, 0xffffff                               // 00000000E590: 8652FF52 00FFFFFF
	s_cmp_lt_u32 s82, s66                                      // 00000000E598: BF0A4252
	s_cselect_b32 s20, s36, s60                                // 00000000E59C: 85143C24
	v_readlane_b32 s82, v3, 9                                  // 00000000E5A0: D2890052 00011303
	s_and_b32 s82, s82, 0xffffff                               // 00000000E5A8: 8652FF52 00FFFFFF
	s_cmp_lt_u32 s82, s66                                      // 00000000E5B0: BF0A4252
	s_cselect_b32 s21, s36, s60                                // 00000000E5B4: 85153C24
	s_mov_b64 exec, s[20:21]                                   // 00000000E5B8: BEFE0114
	global_atomic_add_f32 v6, v100, s[8:9]                     // 00000000E5BC: DD348000 00086406
	global_atomic_add_f32 v6, v104, s[8:9] offset:256          // 00000000E5C4: DD348100 00086806
	s_mov_b64 exec, s[36:37]                                   // 00000000E5CC: BEFE0124
	v_mov_b32_e32 v6, v69                                      // 00000000E5D0: 7E0C0345
	s_mov_b64 s[60:61], 0                                      // 00000000E5D4: BEBC0180
	v_readlane_b32 s82, v3, 10                                 // 00000000E5D8: D2890052 00011503
	s_and_b32 s82, s82, 0xffffff                               // 00000000E5E0: 8652FF52 00FFFFFF
	s_cmp_lt_u32 s82, s66                                      // 00000000E5E8: BF0A4252
	s_cselect_b32 s20, s36, s60                                // 00000000E5EC: 85143C24
	v_readlane_b32 s82, v3, 11                                 // 00000000E5F0: D2890052 00011703
	s_and_b32 s82, s82, 0xffffff                               // 00000000E5F8: 8652FF52 00FFFFFF
	s_cmp_lt_u32 s82, s66                                      // 00000000E600: BF0A4252
	s_cselect_b32 s21, s36, s60                                // 00000000E604: 85153C24
	s_mov_b64 exec, s[20:21]                                   // 00000000E608: BEFE0114
	global_atomic_add_f32 v6, v101, s[8:9]                     // 00000000E60C: DD348000 00086506
	global_atomic_add_f32 v6, v105, s[8:9] offset:256          // 00000000E614: DD348100 00086906
	s_mov_b64 exec, s[36:37]                                   // 00000000E61C: BEFE0124
	v_mov_b32_e32 v6, v70                                      // 00000000E620: 7E0C0346
	s_mov_b64 s[60:61], 0                                      // 00000000E624: BEBC0180
	v_readlane_b32 s82, v3, 12                                 // 00000000E628: D2890052 00011903
	s_and_b32 s82, s82, 0xffffff                               // 00000000E630: 8652FF52 00FFFFFF
	s_cmp_lt_u32 s82, s66                                      // 00000000E638: BF0A4252
	s_cselect_b32 s20, s36, s60                                // 00000000E63C: 85143C24
	v_readlane_b32 s82, v3, 13                                 // 00000000E640: D2890052 00011B03
	s_and_b32 s82, s82, 0xffffff                               // 00000000E648: 8652FF52 00FFFFFF
	s_cmp_lt_u32 s82, s66                                      // 00000000E650: BF0A4252
	s_cselect_b32 s21, s36, s60                                // 00000000E654: 85153C24
	s_mov_b64 exec, s[20:21]                                   // 00000000E658: BEFE0114
	global_atomic_add_f32 v6, v108, s[8:9]                     // 00000000E65C: DD348000 00086C06
	global_atomic_add_f32 v6, v112, s[8:9] offset:256          // 00000000E664: DD348100 00087006
	s_mov_b64 exec, s[36:37]                                   // 00000000E66C: BEFE0124
	v_mov_b32_e32 v6, v71                                      // 00000000E670: 7E0C0347
	s_mov_b64 s[60:61], 0                                      // 00000000E674: BEBC0180
	v_readlane_b32 s82, v3, 14                                 // 00000000E678: D2890052 00011D03
	s_and_b32 s82, s82, 0xffffff                               // 00000000E680: 8652FF52 00FFFFFF
	s_cmp_lt_u32 s82, s66                                      // 00000000E688: BF0A4252
	s_cselect_b32 s20, s36, s60                                // 00000000E68C: 85143C24
	v_readlane_b32 s82, v3, 15                                 // 00000000E690: D2890052 00011F03
	s_and_b32 s82, s82, 0xffffff                               // 00000000E698: 8652FF52 00FFFFFF
	s_cmp_lt_u32 s82, s66                                      // 00000000E6A0: BF0A4252
	s_cselect_b32 s21, s36, s60                                // 00000000E6A4: 85153C24
	s_mov_b64 exec, s[20:21]                                   // 00000000E6A8: BEFE0114
	global_atomic_add_f32 v6, v109, s[8:9]                     // 00000000E6AC: DD348000 00086D06
	global_atomic_add_f32 v6, v113, s[8:9] offset:256          // 00000000E6B4: DD348100 00087106
	s_mov_b64 exec, s[36:37]                                   // 00000000E6BC: BEFE0124
	v_mov_b32_e32 v6, v72                                      // 00000000E6C0: 7E0C0348
	s_mov_b64 s[60:61], 0                                      // 00000000E6C4: BEBC0180
	v_readlane_b32 s82, v3, 16                                 // 00000000E6C8: D2890052 00012103
	s_and_b32 s82, s82, 0xffffff                               // 00000000E6D0: 8652FF52 00FFFFFF
	s_cmp_lt_u32 s82, s66                                      // 00000000E6D8: BF0A4252
	s_cselect_b32 s20, s36, s60                                // 00000000E6DC: 85143C24
	v_readlane_b32 s82, v3, 17                                 // 00000000E6E0: D2890052 00012303
	s_and_b32 s82, s82, 0xffffff                               // 00000000E6E8: 8652FF52 00FFFFFF
	s_cmp_lt_u32 s82, s66                                      // 00000000E6F0: BF0A4252
	s_cselect_b32 s21, s36, s60                                // 00000000E6F4: 85153C24
	s_mov_b64 exec, s[20:21]                                   // 00000000E6F8: BEFE0114
	global_atomic_add_f32 v6, v116, s[8:9]                     // 00000000E6FC: DD348000 00087406
	global_atomic_add_f32 v6, v120, s[8:9] offset:256          // 00000000E704: DD348100 00087806
	s_mov_b64 exec, s[36:37]                                   // 00000000E70C: BEFE0124
	v_mov_b32_e32 v6, v73                                      // 00000000E710: 7E0C0349
	s_mov_b64 s[60:61], 0                                      // 00000000E714: BEBC0180
	v_readlane_b32 s82, v3, 18                                 // 00000000E718: D2890052 00012503
	s_and_b32 s82, s82, 0xffffff                               // 00000000E720: 8652FF52 00FFFFFF
	s_cmp_lt_u32 s82, s66                                      // 00000000E728: BF0A4252
	s_cselect_b32 s20, s36, s60                                // 00000000E72C: 85143C24
	v_readlane_b32 s82, v3, 19                                 // 00000000E730: D2890052 00012703
	s_and_b32 s82, s82, 0xffffff                               // 00000000E738: 8652FF52 00FFFFFF
	s_cmp_lt_u32 s82, s66                                      // 00000000E740: BF0A4252
	s_cselect_b32 s21, s36, s60                                // 00000000E744: 85153C24
	s_mov_b64 exec, s[20:21]                                   // 00000000E748: BEFE0114
	global_atomic_add_f32 v6, v117, s[8:9]                     // 00000000E74C: DD348000 00087506
	global_atomic_add_f32 v6, v121, s[8:9] offset:256          // 00000000E754: DD348100 00087906
	s_mov_b64 exec, s[36:37]                                   // 00000000E75C: BEFE0124
	v_mov_b32_e32 v6, v74                                      // 00000000E760: 7E0C034A
	s_mov_b64 s[60:61], 0                                      // 00000000E764: BEBC0180
	v_readlane_b32 s82, v3, 20                                 // 00000000E768: D2890052 00012903
	s_and_b32 s82, s82, 0xffffff                               // 00000000E770: 8652FF52 00FFFFFF
	s_cmp_lt_u32 s82, s66                                      // 00000000E778: BF0A4252
	s_cselect_b32 s20, s36, s60                                // 00000000E77C: 85143C24
	v_readlane_b32 s82, v3, 21                                 // 00000000E780: D2890052 00012B03
	s_and_b32 s82, s82, 0xffffff                               // 00000000E788: 8652FF52 00FFFFFF
	s_cmp_lt_u32 s82, s66                                      // 00000000E790: BF0A4252
	s_cselect_b32 s21, s36, s60                                // 00000000E794: 85153C24
	s_mov_b64 exec, s[20:21]                                   // 00000000E798: BEFE0114
	global_atomic_add_f32 v6, v124, s[8:9]                     // 00000000E79C: DD348000 00087C06
	global_atomic_add_f32 v6, v128, s[8:9] offset:256          // 00000000E7A4: DD348100 00088006
	s_mov_b64 exec, s[36:37]                                   // 00000000E7AC: BEFE0124
	v_mov_b32_e32 v6, v75                                      // 00000000E7B0: 7E0C034B
	s_mov_b64 s[60:61], 0                                      // 00000000E7B4: BEBC0180
	v_readlane_b32 s82, v3, 22                                 // 00000000E7B8: D2890052 00012D03
	s_and_b32 s82, s82, 0xffffff                               // 00000000E7C0: 8652FF52 00FFFFFF
	s_cmp_lt_u32 s82, s66                                      // 00000000E7C8: BF0A4252
	s_cselect_b32 s20, s36, s60                                // 00000000E7CC: 85143C24
	v_readlane_b32 s82, v3, 23                                 // 00000000E7D0: D2890052 00012F03
	s_and_b32 s82, s82, 0xffffff                               // 00000000E7D8: 8652FF52 00FFFFFF
	s_cmp_lt_u32 s82, s66                                      // 00000000E7E0: BF0A4252
	s_cselect_b32 s21, s36, s60                                // 00000000E7E4: 85153C24
	s_mov_b64 exec, s[20:21]                                   // 00000000E7E8: BEFE0114
	global_atomic_add_f32 v6, v125, s[8:9]                     // 00000000E7EC: DD348000 00087D06
	global_atomic_add_f32 v6, v129, s[8:9] offset:256          // 00000000E7F4: DD348100 00088106
	s_mov_b64 exec, s[36:37]                                   // 00000000E7FC: BEFE0124
	v_mov_b32_e32 v6, v76                                      // 00000000E800: 7E0C034C
	s_mov_b64 s[60:61], 0                                      // 00000000E804: BEBC0180
	v_readlane_b32 s82, v3, 24                                 // 00000000E808: D2890052 00013103
	s_and_b32 s82, s82, 0xffffff                               // 00000000E810: 8652FF52 00FFFFFF
	s_cmp_lt_u32 s82, s66                                      // 00000000E818: BF0A4252
	s_cselect_b32 s20, s36, s60                                // 00000000E81C: 85143C24
	v_readlane_b32 s82, v3, 25                                 // 00000000E820: D2890052 00013303
	s_and_b32 s82, s82, 0xffffff                               // 00000000E828: 8652FF52 00FFFFFF
	s_cmp_lt_u32 s82, s66                                      // 00000000E830: BF0A4252
	s_cselect_b32 s21, s36, s60                                // 00000000E834: 85153C24
	s_mov_b64 exec, s[20:21]                                   // 00000000E838: BEFE0114
	global_atomic_add_f32 v6, v132, s[8:9]                     // 00000000E83C: DD348000 00088406
	global_atomic_add_f32 v6, v136, s[8:9] offset:256          // 00000000E844: DD348100 00088806
	s_mov_b64 exec, s[36:37]                                   // 00000000E84C: BEFE0124
	v_mov_b32_e32 v6, v77                                      // 00000000E850: 7E0C034D
	s_mov_b64 s[60:61], 0                                      // 00000000E854: BEBC0180
	v_readlane_b32 s82, v3, 26                                 // 00000000E858: D2890052 00013503
	s_and_b32 s82, s82, 0xffffff                               // 00000000E860: 8652FF52 00FFFFFF
	s_cmp_lt_u32 s82, s66                                      // 00000000E868: BF0A4252
	s_cselect_b32 s20, s36, s60                                // 00000000E86C: 85143C24
	v_readlane_b32 s82, v3, 27                                 // 00000000E870: D2890052 00013703
	s_and_b32 s82, s82, 0xffffff                               // 00000000E878: 8652FF52 00FFFFFF
	s_cmp_lt_u32 s82, s66                                      // 00000000E880: BF0A4252
	s_cselect_b32 s21, s36, s60                                // 00000000E884: 85153C24
	s_mov_b64 exec, s[20:21]                                   // 00000000E888: BEFE0114
	global_atomic_add_f32 v6, v133, s[8:9]                     // 00000000E88C: DD348000 00088506
	global_atomic_add_f32 v6, v137, s[8:9] offset:256          // 00000000E894: DD348100 00088906
	s_mov_b64 exec, s[36:37]                                   // 00000000E89C: BEFE0124
	v_mov_b32_e32 v6, v78                                      // 00000000E8A0: 7E0C034E
	s_mov_b64 s[60:61], 0                                      // 00000000E8A4: BEBC0180
	v_readlane_b32 s82, v3, 28                                 // 00000000E8A8: D2890052 00013903
	s_and_b32 s82, s82, 0xffffff                               // 00000000E8B0: 8652FF52 00FFFFFF
	s_cmp_lt_u32 s82, s66                                      // 00000000E8B8: BF0A4252
	s_cselect_b32 s20, s36, s60                                // 00000000E8BC: 85143C24
	v_readlane_b32 s82, v3, 29                                 // 00000000E8C0: D2890052 00013B03
	s_and_b32 s82, s82, 0xffffff                               // 00000000E8C8: 8652FF52 00FFFFFF
	s_cmp_lt_u32 s82, s66                                      // 00000000E8D0: BF0A4252
	s_cselect_b32 s21, s36, s60                                // 00000000E8D4: 85153C24
	s_mov_b64 exec, s[20:21]                                   // 00000000E8D8: BEFE0114
	global_atomic_add_f32 v6, v140, s[8:9]                     // 00000000E8DC: DD348000 00088C06
	global_atomic_add_f32 v6, v144, s[8:9] offset:256          // 00000000E8E4: DD348100 00089006
	s_mov_b64 exec, s[36:37]                                   // 00000000E8EC: BEFE0124
	v_mov_b32_e32 v6, v79                                      // 00000000E8F0: 7E0C034F
	s_mov_b64 s[60:61], 0                                      // 00000000E8F4: BEBC0180
	v_readlane_b32 s82, v3, 30                                 // 00000000E8F8: D2890052 00013D03
	s_and_b32 s82, s82, 0xffffff                               // 00000000E900: 8652FF52 00FFFFFF
	s_cmp_lt_u32 s82, s66                                      // 00000000E908: BF0A4252
	s_cselect_b32 s20, s36, s60                                // 00000000E90C: 85143C24
	v_readlane_b32 s82, v3, 31                                 // 00000000E910: D2890052 00013F03
	s_and_b32 s82, s82, 0xffffff                               // 00000000E918: 8652FF52 00FFFFFF
	s_cmp_lt_u32 s82, s66                                      // 00000000E920: BF0A4252
	s_cselect_b32 s21, s36, s60                                // 00000000E924: 85153C24
	s_mov_b64 exec, s[20:21]                                   // 00000000E928: BEFE0114
	global_atomic_add_f32 v6, v141, s[8:9]                     // 00000000E92C: DD348000 00088D06
	global_atomic_add_f32 v6, v145, s[8:9] offset:256          // 00000000E934: DD348100 00089106
	s_mov_b64 exec, s[36:37]                                   // 00000000E93C: BEFE0124
	v_mov_b32_e32 v6, v80                                      // 00000000E940: 7E0C0350
	s_mov_b64 s[60:61], 0                                      // 00000000E944: BEBC0180
	v_readlane_b32 s82, v3, 32                                 // 00000000E948: D2890052 00014103
	s_and_b32 s82, s82, 0xffffff                               // 00000000E950: 8652FF52 00FFFFFF
	s_cmp_lt_u32 s82, s66                                      // 00000000E958: BF0A4252
	s_cselect_b32 s20, s36, s60                                // 00000000E95C: 85143C24
	v_readlane_b32 s82, v3, 33                                 // 00000000E960: D2890052 00014303
	s_and_b32 s82, s82, 0xffffff                               // 00000000E968: 8652FF52 00FFFFFF
	s_cmp_lt_u32 s82, s66                                      // 00000000E970: BF0A4252
	s_cselect_b32 s21, s36, s60                                // 00000000E974: 85153C24
	s_mov_b64 exec, s[20:21]                                   // 00000000E978: BEFE0114
	global_atomic_add_f32 v6, v148, s[8:9]                     // 00000000E97C: DD348000 00089406
	global_atomic_add_f32 v6, v152, s[8:9] offset:256          // 00000000E984: DD348100 00089806
	s_mov_b64 exec, s[36:37]                                   // 00000000E98C: BEFE0124
	v_mov_b32_e32 v6, v81                                      // 00000000E990: 7E0C0351
	s_mov_b64 s[60:61], 0                                      // 00000000E994: BEBC0180
	v_readlane_b32 s82, v3, 34                                 // 00000000E998: D2890052 00014503
	s_and_b32 s82, s82, 0xffffff                               // 00000000E9A0: 8652FF52 00FFFFFF
	s_cmp_lt_u32 s82, s66                                      // 00000000E9A8: BF0A4252
	s_cselect_b32 s20, s36, s60                                // 00000000E9AC: 85143C24
	v_readlane_b32 s82, v3, 35                                 // 00000000E9B0: D2890052 00014703
	s_and_b32 s82, s82, 0xffffff                               // 00000000E9B8: 8652FF52 00FFFFFF
	s_cmp_lt_u32 s82, s66                                      // 00000000E9C0: BF0A4252
	s_cselect_b32 s21, s36, s60                                // 00000000E9C4: 85153C24
	s_mov_b64 exec, s[20:21]                                   // 00000000E9C8: BEFE0114
	global_atomic_add_f32 v6, v149, s[8:9]                     // 00000000E9CC: DD348000 00089506
	global_atomic_add_f32 v6, v153, s[8:9] offset:256          // 00000000E9D4: DD348100 00089906
	s_mov_b64 exec, s[36:37]                                   // 00000000E9DC: BEFE0124
	ds_write_b64 v20, v[86:87]                                 // 00000000E9E0: D89A0000 00005614
	ds_write_b64 v20, v[90:91] offset:4352                     // 00000000E9E8: D89A1100 00005A14
	ds_write_b64 v20, v[94:95] offset:8704                     // 00000000E9F0: D89A2200 00005E14
	ds_write_b64 v20, v[98:99] offset:13056                    // 00000000E9F8: D89A3300 00006214
	ds_write_b64 v20, v[102:103] offset:17408                  // 00000000EA00: D89A4400 00006614
	ds_write_b64 v20, v[106:107] offset:21760                  // 00000000EA08: D89A5500 00006A14
	ds_write_b64 v20, v[110:111] offset:26112                  // 00000000EA10: D89A6600 00006E14
	ds_write_b64 v20, v[114:115] offset:30464                  // 00000000EA18: D89A7700 00007214
	ds_write_b64 v20, v[118:119] offset:34816                  // 00000000EA20: D89A8800 00007614
	ds_write_b64 v20, v[122:123] offset:2176                   // 00000000EA28: D89A0880 00007A14
	ds_write_b64 v20, v[126:127] offset:6528                   // 00000000EA30: D89A1980 00007E14
	ds_write_b64 v20, v[130:131] offset:10880                  // 00000000EA38: D89A2A80 00008214
	ds_write_b64 v20, v[134:135] offset:15232                  // 00000000EA40: D89A3B80 00008614
	ds_write_b64 v20, v[138:139] offset:19584                  // 00000000EA48: D89A4C80 00008A14
	ds_write_b64 v20, v[142:143] offset:23936                  // 00000000EA50: D89A5D80 00008E14
	ds_write_b64 v20, v[146:147] offset:28288                  // 00000000EA58: D89A6E80 00009214
	ds_write_b64 v20, v[150:151] offset:32640                  // 00000000EA60: D89A7F80 00009614
	ds_write_b64 v20, v[154:155] offset:36992                  // 00000000EA68: D89A9080 00009A14
	s_waitcnt lgkmcnt(0)                                       // 00000000EA70: BF8CC07F
	s_barrier                                                  // 00000000EA74: BF8A0000
	ds_read_b32 v86, v21                                       // 00000000EA78: D86C0000 56000015
	ds_read_b32 v87, v21 offset:64                             // 00000000EA80: D86C0040 57000015
	ds_read_b32 v90, v21 offset:2176                           // 00000000EA88: D86C0880 5A000015
	ds_read_b32 v91, v21 offset:2240                           // 00000000EA90: D86C08C0 5B000015
	ds_read_b32 v94, v21 offset:4352                           // 00000000EA98: D86C1100 5E000015
	ds_read_b32 v95, v21 offset:4416                           // 00000000EAA0: D86C1140 5F000015
	ds_read_b32 v98, v21 offset:6528                           // 00000000EAA8: D86C1980 62000015
	ds_read_b32 v99, v21 offset:6592                           // 00000000EAB0: D86C19C0 63000015
	ds_read_b32 v102, v21 offset:8704                          // 00000000EAB8: D86C2200 66000015
	ds_read_b32 v103, v21 offset:8768                          // 00000000EAC0: D86C2240 67000015
	ds_read_b32 v106, v21 offset:10880                         // 00000000EAC8: D86C2A80 6A000015
	ds_read_b32 v107, v21 offset:10944                         // 00000000EAD0: D86C2AC0 6B000015
	ds_read_b32 v110, v21 offset:13056                         // 00000000EAD8: D86C3300 6E000015
	ds_read_b32 v111, v21 offset:13120                         // 00000000EAE0: D86C3340 6F000015
	ds_read_b32 v114, v21 offset:15232                         // 00000000EAE8: D86C3B80 72000015
	ds_read_b32 v115, v21 offset:15296                         // 00000000EAF0: D86C3BC0 73000015
	ds_read_b32 v118, v21 offset:17408                         // 00000000EAF8: D86C4400 76000015
	ds_read_b32 v119, v21 offset:17472                         // 00000000EB00: D86C4440 77000015
	ds_read_b32 v122, v21 offset:19584                         // 00000000EB08: D86C4C80 7A000015
	ds_read_b32 v123, v21 offset:19648                         // 00000000EB10: D86C4CC0 7B000015
	ds_read_b32 v126, v21 offset:21760                         // 00000000EB18: D86C5500 7E000015
	ds_read_b32 v127, v21 offset:21824                         // 00000000EB20: D86C5540 7F000015
	ds_read_b32 v130, v21 offset:23936                         // 00000000EB28: D86C5D80 82000015
	ds_read_b32 v131, v21 offset:24000                         // 00000000EB30: D86C5DC0 83000015
	ds_read_b32 v134, v21 offset:26112                         // 00000000EB38: D86C6600 86000015
	ds_read_b32 v135, v21 offset:26176                         // 00000000EB40: D86C6640 87000015
	ds_read_b32 v138, v21 offset:28288                         // 00000000EB48: D86C6E80 8A000015
	ds_read_b32 v139, v21 offset:28352                         // 00000000EB50: D86C6EC0 8B000015
	ds_read_b32 v142, v21 offset:30464                         // 00000000EB58: D86C7700 8E000015
	ds_read_b32 v143, v21 offset:30528                         // 00000000EB60: D86C7740 8F000015
	ds_read_b32 v146, v21 offset:32640                         // 00000000EB68: D86C7F80 92000015
	ds_read_b32 v147, v21 offset:32704                         // 00000000EB70: D86C7FC0 93000015
	ds_read_b32 v150, v21 offset:34816                         // 00000000EB78: D86C8800 96000015
	ds_read_b32 v151, v21 offset:34880                         // 00000000EB80: D86C8840 97000015
	ds_read_b32 v154, v21 offset:36992                         // 00000000EB88: D86C9080 9A000015
	ds_read_b32 v155, v21 offset:37056                         // 00000000EB90: D86C90C0 9B000015
	s_waitcnt lgkmcnt(0)                                       // 00000000EB98: BF8CC07F
	v_mov_b32_e32 v7, 0                                        // 00000000EB9C: 7E0E0280
	s_mov_b64 exec, s[36:37]                                   // 00000000EBA0: BEFE0124
	v_mov_b32_e32 v6, v64                                      // 00000000EBA4: 7E0C0340
	s_mov_b64 s[60:61], 0                                      // 00000000EBA8: BEBC0180
	v_readlane_b32 s82, v3, 0                                  // 00000000EBAC: D2890052 00010103
	s_and_b32 s82, s82, 0xffffff                               // 00000000EBB4: 8652FF52 00FFFFFF
	s_cmp_lt_u32 s82, s66                                      // 00000000EBBC: BF0A4252
	s_cselect_b32 s20, s36, s60                                // 00000000EBC0: 85143C24
	v_readlane_b32 s82, v3, 1                                  // 00000000EBC4: D2890052 00010303
	s_and_b32 s82, s82, 0xffffff                               // 00000000EBCC: 8652FF52 00FFFFFF
	s_cmp_lt_u32 s82, s66                                      // 00000000EBD4: BF0A4252
	s_cselect_b32 s21, s36, s60                                // 00000000EBD8: 85153C24
	s_mov_b64 exec, s[20:21]                                   // 00000000EBDC: BEFE0114
	global_atomic_add_f32 v6, v86, s[8:9] offset:8             // 00000000EBE0: DD348008 00085606
	global_atomic_add_f32 v6, v90, s[8:9] offset:264           // 00000000EBE8: DD348108 00085A06
	s_mov_b64 exec, s[36:37]                                   // 00000000EBF0: BEFE0124
	v_mov_b32_e32 v6, v65                                      // 00000000EBF4: 7E0C0341
	s_mov_b64 s[60:61], 0                                      // 00000000EBF8: BEBC0180
	v_readlane_b32 s82, v3, 2                                  // 00000000EBFC: D2890052 00010503
	s_and_b32 s82, s82, 0xffffff                               // 00000000EC04: 8652FF52 00FFFFFF
	s_cmp_lt_u32 s82, s66                                      // 00000000EC0C: BF0A4252
	s_cselect_b32 s20, s36, s60                                // 00000000EC10: 85143C24
	v_readlane_b32 s82, v3, 3                                  // 00000000EC14: D2890052 00010703
	s_and_b32 s82, s82, 0xffffff                               // 00000000EC1C: 8652FF52 00FFFFFF
	s_cmp_lt_u32 s82, s66                                      // 00000000EC24: BF0A4252
	s_cselect_b32 s21, s36, s60                                // 00000000EC28: 85153C24
	s_mov_b64 exec, s[20:21]                                   // 00000000EC2C: BEFE0114
	global_atomic_add_f32 v6, v87, s[8:9] offset:8             // 00000000EC30: DD348008 00085706
	global_atomic_add_f32 v6, v91, s[8:9] offset:264           // 00000000EC38: DD348108 00085B06
	s_mov_b64 exec, s[36:37]                                   // 00000000EC40: BEFE0124
	v_mov_b32_e32 v6, v66                                      // 00000000EC44: 7E0C0342
	s_mov_b64 s[60:61], 0                                      // 00000000EC48: BEBC0180
	v_readlane_b32 s82, v3, 4                                  // 00000000EC4C: D2890052 00010903
	s_and_b32 s82, s82, 0xffffff                               // 00000000EC54: 8652FF52 00FFFFFF
	s_cmp_lt_u32 s82, s66                                      // 00000000EC5C: BF0A4252
	s_cselect_b32 s20, s36, s60                                // 00000000EC60: 85143C24
	v_readlane_b32 s82, v3, 5                                  // 00000000EC64: D2890052 00010B03
	s_and_b32 s82, s82, 0xffffff                               // 00000000EC6C: 8652FF52 00FFFFFF
	s_cmp_lt_u32 s82, s66                                      // 00000000EC74: BF0A4252
	s_cselect_b32 s21, s36, s60                                // 00000000EC78: 85153C24
	s_mov_b64 exec, s[20:21]                                   // 00000000EC7C: BEFE0114
	global_atomic_add_f32 v6, v94, s[8:9] offset:8             // 00000000EC80: DD348008 00085E06
	global_atomic_add_f32 v6, v98, s[8:9] offset:264           // 00000000EC88: DD348108 00086206
	s_mov_b64 exec, s[36:37]                                   // 00000000EC90: BEFE0124
	v_mov_b32_e32 v6, v67                                      // 00000000EC94: 7E0C0343
	s_mov_b64 s[60:61], 0                                      // 00000000EC98: BEBC0180
	v_readlane_b32 s82, v3, 6                                  // 00000000EC9C: D2890052 00010D03
	s_and_b32 s82, s82, 0xffffff                               // 00000000ECA4: 8652FF52 00FFFFFF
	s_cmp_lt_u32 s82, s66                                      // 00000000ECAC: BF0A4252
	s_cselect_b32 s20, s36, s60                                // 00000000ECB0: 85143C24
	v_readlane_b32 s82, v3, 7                                  // 00000000ECB4: D2890052 00010F03
	s_and_b32 s82, s82, 0xffffff                               // 00000000ECBC: 8652FF52 00FFFFFF
	s_cmp_lt_u32 s82, s66                                      // 00000000ECC4: BF0A4252
	s_cselect_b32 s21, s36, s60                                // 00000000ECC8: 85153C24
	s_mov_b64 exec, s[20:21]                                   // 00000000ECCC: BEFE0114
	global_atomic_add_f32 v6, v95, s[8:9] offset:8             // 00000000ECD0: DD348008 00085F06
	global_atomic_add_f32 v6, v99, s[8:9] offset:264           // 00000000ECD8: DD348108 00086306
	s_mov_b64 exec, s[36:37]                                   // 00000000ECE0: BEFE0124
	v_mov_b32_e32 v6, v68                                      // 00000000ECE4: 7E0C0344
	s_mov_b64 s[60:61], 0                                      // 00000000ECE8: BEBC0180
	v_readlane_b32 s82, v3, 8                                  // 00000000ECEC: D2890052 00011103
	s_and_b32 s82, s82, 0xffffff                               // 00000000ECF4: 8652FF52 00FFFFFF
	s_cmp_lt_u32 s82, s66                                      // 00000000ECFC: BF0A4252
	s_cselect_b32 s20, s36, s60                                // 00000000ED00: 85143C24
	v_readlane_b32 s82, v3, 9                                  // 00000000ED04: D2890052 00011303
	s_and_b32 s82, s82, 0xffffff                               // 00000000ED0C: 8652FF52 00FFFFFF
	s_cmp_lt_u32 s82, s66                                      // 00000000ED14: BF0A4252
	s_cselect_b32 s21, s36, s60                                // 00000000ED18: 85153C24
	s_mov_b64 exec, s[20:21]                                   // 00000000ED1C: BEFE0114
	global_atomic_add_f32 v6, v102, s[8:9] offset:8            // 00000000ED20: DD348008 00086606
	global_atomic_add_f32 v6, v106, s[8:9] offset:264          // 00000000ED28: DD348108 00086A06
	s_mov_b64 exec, s[36:37]                                   // 00000000ED30: BEFE0124
	v_mov_b32_e32 v6, v69                                      // 00000000ED34: 7E0C0345
	s_mov_b64 s[60:61], 0                                      // 00000000ED38: BEBC0180
	v_readlane_b32 s82, v3, 10                                 // 00000000ED3C: D2890052 00011503
	s_and_b32 s82, s82, 0xffffff                               // 00000000ED44: 8652FF52 00FFFFFF
	s_cmp_lt_u32 s82, s66                                      // 00000000ED4C: BF0A4252
	s_cselect_b32 s20, s36, s60                                // 00000000ED50: 85143C24
	v_readlane_b32 s82, v3, 11                                 // 00000000ED54: D2890052 00011703
	s_and_b32 s82, s82, 0xffffff                               // 00000000ED5C: 8652FF52 00FFFFFF
	s_cmp_lt_u32 s82, s66                                      // 00000000ED64: BF0A4252
	s_cselect_b32 s21, s36, s60                                // 00000000ED68: 85153C24
	s_mov_b64 exec, s[20:21]                                   // 00000000ED6C: BEFE0114
	global_atomic_add_f32 v6, v103, s[8:9] offset:8            // 00000000ED70: DD348008 00086706
	global_atomic_add_f32 v6, v107, s[8:9] offset:264          // 00000000ED78: DD348108 00086B06
	s_mov_b64 exec, s[36:37]                                   // 00000000ED80: BEFE0124
	v_mov_b32_e32 v6, v70                                      // 00000000ED84: 7E0C0346
	s_mov_b64 s[60:61], 0                                      // 00000000ED88: BEBC0180
	v_readlane_b32 s82, v3, 12                                 // 00000000ED8C: D2890052 00011903
	s_and_b32 s82, s82, 0xffffff                               // 00000000ED94: 8652FF52 00FFFFFF
	s_cmp_lt_u32 s82, s66                                      // 00000000ED9C: BF0A4252
	s_cselect_b32 s20, s36, s60                                // 00000000EDA0: 85143C24
	v_readlane_b32 s82, v3, 13                                 // 00000000EDA4: D2890052 00011B03
	s_and_b32 s82, s82, 0xffffff                               // 00000000EDAC: 8652FF52 00FFFFFF
	s_cmp_lt_u32 s82, s66                                      // 00000000EDB4: BF0A4252
	s_cselect_b32 s21, s36, s60                                // 00000000EDB8: 85153C24
	s_mov_b64 exec, s[20:21]                                   // 00000000EDBC: BEFE0114
	global_atomic_add_f32 v6, v110, s[8:9] offset:8            // 00000000EDC0: DD348008 00086E06
	global_atomic_add_f32 v6, v114, s[8:9] offset:264          // 00000000EDC8: DD348108 00087206
	s_mov_b64 exec, s[36:37]                                   // 00000000EDD0: BEFE0124
	v_mov_b32_e32 v6, v71                                      // 00000000EDD4: 7E0C0347
	s_mov_b64 s[60:61], 0                                      // 00000000EDD8: BEBC0180
	v_readlane_b32 s82, v3, 14                                 // 00000000EDDC: D2890052 00011D03
	s_and_b32 s82, s82, 0xffffff                               // 00000000EDE4: 8652FF52 00FFFFFF
	s_cmp_lt_u32 s82, s66                                      // 00000000EDEC: BF0A4252
	s_cselect_b32 s20, s36, s60                                // 00000000EDF0: 85143C24
	v_readlane_b32 s82, v3, 15                                 // 00000000EDF4: D2890052 00011F03
	s_and_b32 s82, s82, 0xffffff                               // 00000000EDFC: 8652FF52 00FFFFFF
	s_cmp_lt_u32 s82, s66                                      // 00000000EE04: BF0A4252
	s_cselect_b32 s21, s36, s60                                // 00000000EE08: 85153C24
	s_mov_b64 exec, s[20:21]                                   // 00000000EE0C: BEFE0114
	global_atomic_add_f32 v6, v111, s[8:9] offset:8            // 00000000EE10: DD348008 00086F06
	global_atomic_add_f32 v6, v115, s[8:9] offset:264          // 00000000EE18: DD348108 00087306
	s_mov_b64 exec, s[36:37]                                   // 00000000EE20: BEFE0124
	v_mov_b32_e32 v6, v72                                      // 00000000EE24: 7E0C0348
	s_mov_b64 s[60:61], 0                                      // 00000000EE28: BEBC0180
	v_readlane_b32 s82, v3, 16                                 // 00000000EE2C: D2890052 00012103
	s_and_b32 s82, s82, 0xffffff                               // 00000000EE34: 8652FF52 00FFFFFF
	s_cmp_lt_u32 s82, s66                                      // 00000000EE3C: BF0A4252
	s_cselect_b32 s20, s36, s60                                // 00000000EE40: 85143C24
	v_readlane_b32 s82, v3, 17                                 // 00000000EE44: D2890052 00012303
	s_and_b32 s82, s82, 0xffffff                               // 00000000EE4C: 8652FF52 00FFFFFF
	s_cmp_lt_u32 s82, s66                                      // 00000000EE54: BF0A4252
	s_cselect_b32 s21, s36, s60                                // 00000000EE58: 85153C24
	s_mov_b64 exec, s[20:21]                                   // 00000000EE5C: BEFE0114
	global_atomic_add_f32 v6, v118, s[8:9] offset:8            // 00000000EE60: DD348008 00087606
	global_atomic_add_f32 v6, v122, s[8:9] offset:264          // 00000000EE68: DD348108 00087A06
	s_mov_b64 exec, s[36:37]                                   // 00000000EE70: BEFE0124
	v_mov_b32_e32 v6, v73                                      // 00000000EE74: 7E0C0349
	s_mov_b64 s[60:61], 0                                      // 00000000EE78: BEBC0180
	v_readlane_b32 s82, v3, 18                                 // 00000000EE7C: D2890052 00012503
	s_and_b32 s82, s82, 0xffffff                               // 00000000EE84: 8652FF52 00FFFFFF
	s_cmp_lt_u32 s82, s66                                      // 00000000EE8C: BF0A4252
	s_cselect_b32 s20, s36, s60                                // 00000000EE90: 85143C24
	v_readlane_b32 s82, v3, 19                                 // 00000000EE94: D2890052 00012703
	s_and_b32 s82, s82, 0xffffff                               // 00000000EE9C: 8652FF52 00FFFFFF
	s_cmp_lt_u32 s82, s66                                      // 00000000EEA4: BF0A4252
	s_cselect_b32 s21, s36, s60                                // 00000000EEA8: 85153C24
	s_mov_b64 exec, s[20:21]                                   // 00000000EEAC: BEFE0114
	global_atomic_add_f32 v6, v119, s[8:9] offset:8            // 00000000EEB0: DD348008 00087706
	global_atomic_add_f32 v6, v123, s[8:9] offset:264          // 00000000EEB8: DD348108 00087B06
	s_mov_b64 exec, s[36:37]                                   // 00000000EEC0: BEFE0124
	v_mov_b32_e32 v6, v74                                      // 00000000EEC4: 7E0C034A
	s_mov_b64 s[60:61], 0                                      // 00000000EEC8: BEBC0180
	v_readlane_b32 s82, v3, 20                                 // 00000000EECC: D2890052 00012903
	s_and_b32 s82, s82, 0xffffff                               // 00000000EED4: 8652FF52 00FFFFFF
	s_cmp_lt_u32 s82, s66                                      // 00000000EEDC: BF0A4252
	s_cselect_b32 s20, s36, s60                                // 00000000EEE0: 85143C24
	v_readlane_b32 s82, v3, 21                                 // 00000000EEE4: D2890052 00012B03
	s_and_b32 s82, s82, 0xffffff                               // 00000000EEEC: 8652FF52 00FFFFFF
	s_cmp_lt_u32 s82, s66                                      // 00000000EEF4: BF0A4252
	s_cselect_b32 s21, s36, s60                                // 00000000EEF8: 85153C24
	s_mov_b64 exec, s[20:21]                                   // 00000000EEFC: BEFE0114
	global_atomic_add_f32 v6, v126, s[8:9] offset:8            // 00000000EF00: DD348008 00087E06
	global_atomic_add_f32 v6, v130, s[8:9] offset:264          // 00000000EF08: DD348108 00088206
	s_mov_b64 exec, s[36:37]                                   // 00000000EF10: BEFE0124
	v_mov_b32_e32 v6, v75                                      // 00000000EF14: 7E0C034B
	s_mov_b64 s[60:61], 0                                      // 00000000EF18: BEBC0180
	v_readlane_b32 s82, v3, 22                                 // 00000000EF1C: D2890052 00012D03
	s_and_b32 s82, s82, 0xffffff                               // 00000000EF24: 8652FF52 00FFFFFF
	s_cmp_lt_u32 s82, s66                                      // 00000000EF2C: BF0A4252
	s_cselect_b32 s20, s36, s60                                // 00000000EF30: 85143C24
	v_readlane_b32 s82, v3, 23                                 // 00000000EF34: D2890052 00012F03
	s_and_b32 s82, s82, 0xffffff                               // 00000000EF3C: 8652FF52 00FFFFFF
	s_cmp_lt_u32 s82, s66                                      // 00000000EF44: BF0A4252
	s_cselect_b32 s21, s36, s60                                // 00000000EF48: 85153C24
	s_mov_b64 exec, s[20:21]                                   // 00000000EF4C: BEFE0114
	global_atomic_add_f32 v6, v127, s[8:9] offset:8            // 00000000EF50: DD348008 00087F06
	global_atomic_add_f32 v6, v131, s[8:9] offset:264          // 00000000EF58: DD348108 00088306
	s_mov_b64 exec, s[36:37]                                   // 00000000EF60: BEFE0124
	v_mov_b32_e32 v6, v76                                      // 00000000EF64: 7E0C034C
	s_mov_b64 s[60:61], 0                                      // 00000000EF68: BEBC0180
	v_readlane_b32 s82, v3, 24                                 // 00000000EF6C: D2890052 00013103
	s_and_b32 s82, s82, 0xffffff                               // 00000000EF74: 8652FF52 00FFFFFF
	s_cmp_lt_u32 s82, s66                                      // 00000000EF7C: BF0A4252
	s_cselect_b32 s20, s36, s60                                // 00000000EF80: 85143C24
	v_readlane_b32 s82, v3, 25                                 // 00000000EF84: D2890052 00013303
	s_and_b32 s82, s82, 0xffffff                               // 00000000EF8C: 8652FF52 00FFFFFF
	s_cmp_lt_u32 s82, s66                                      // 00000000EF94: BF0A4252
	s_cselect_b32 s21, s36, s60                                // 00000000EF98: 85153C24
	s_mov_b64 exec, s[20:21]                                   // 00000000EF9C: BEFE0114
	global_atomic_add_f32 v6, v134, s[8:9] offset:8            // 00000000EFA0: DD348008 00088606
	global_atomic_add_f32 v6, v138, s[8:9] offset:264          // 00000000EFA8: DD348108 00088A06
	s_mov_b64 exec, s[36:37]                                   // 00000000EFB0: BEFE0124
	v_mov_b32_e32 v6, v77                                      // 00000000EFB4: 7E0C034D
	s_mov_b64 s[60:61], 0                                      // 00000000EFB8: BEBC0180
	v_readlane_b32 s82, v3, 26                                 // 00000000EFBC: D2890052 00013503
	s_and_b32 s82, s82, 0xffffff                               // 00000000EFC4: 8652FF52 00FFFFFF
	s_cmp_lt_u32 s82, s66                                      // 00000000EFCC: BF0A4252
	s_cselect_b32 s20, s36, s60                                // 00000000EFD0: 85143C24
	v_readlane_b32 s82, v3, 27                                 // 00000000EFD4: D2890052 00013703
	s_and_b32 s82, s82, 0xffffff                               // 00000000EFDC: 8652FF52 00FFFFFF
	s_cmp_lt_u32 s82, s66                                      // 00000000EFE4: BF0A4252
	s_cselect_b32 s21, s36, s60                                // 00000000EFE8: 85153C24
	s_mov_b64 exec, s[20:21]                                   // 00000000EFEC: BEFE0114
	global_atomic_add_f32 v6, v135, s[8:9] offset:8            // 00000000EFF0: DD348008 00088706
	global_atomic_add_f32 v6, v139, s[8:9] offset:264          // 00000000EFF8: DD348108 00088B06
	s_mov_b64 exec, s[36:37]                                   // 00000000F000: BEFE0124
	v_mov_b32_e32 v6, v78                                      // 00000000F004: 7E0C034E
	s_mov_b64 s[60:61], 0                                      // 00000000F008: BEBC0180
	v_readlane_b32 s82, v3, 28                                 // 00000000F00C: D2890052 00013903
	s_and_b32 s82, s82, 0xffffff                               // 00000000F014: 8652FF52 00FFFFFF
	s_cmp_lt_u32 s82, s66                                      // 00000000F01C: BF0A4252
	s_cselect_b32 s20, s36, s60                                // 00000000F020: 85143C24
	v_readlane_b32 s82, v3, 29                                 // 00000000F024: D2890052 00013B03
	s_and_b32 s82, s82, 0xffffff                               // 00000000F02C: 8652FF52 00FFFFFF
	s_cmp_lt_u32 s82, s66                                      // 00000000F034: BF0A4252
	s_cselect_b32 s21, s36, s60                                // 00000000F038: 85153C24
	s_mov_b64 exec, s[20:21]                                   // 00000000F03C: BEFE0114
	global_atomic_add_f32 v6, v142, s[8:9] offset:8            // 00000000F040: DD348008 00088E06
	global_atomic_add_f32 v6, v146, s[8:9] offset:264          // 00000000F048: DD348108 00089206
	s_mov_b64 exec, s[36:37]                                   // 00000000F050: BEFE0124
	v_mov_b32_e32 v6, v79                                      // 00000000F054: 7E0C034F
	s_mov_b64 s[60:61], 0                                      // 00000000F058: BEBC0180
	v_readlane_b32 s82, v3, 30                                 // 00000000F05C: D2890052 00013D03
	s_and_b32 s82, s82, 0xffffff                               // 00000000F064: 8652FF52 00FFFFFF
	s_cmp_lt_u32 s82, s66                                      // 00000000F06C: BF0A4252
	s_cselect_b32 s20, s36, s60                                // 00000000F070: 85143C24
	v_readlane_b32 s82, v3, 31                                 // 00000000F074: D2890052 00013F03
	s_and_b32 s82, s82, 0xffffff                               // 00000000F07C: 8652FF52 00FFFFFF
	s_cmp_lt_u32 s82, s66                                      // 00000000F084: BF0A4252
	s_cselect_b32 s21, s36, s60                                // 00000000F088: 85153C24
	s_mov_b64 exec, s[20:21]                                   // 00000000F08C: BEFE0114
	global_atomic_add_f32 v6, v143, s[8:9] offset:8            // 00000000F090: DD348008 00088F06
	global_atomic_add_f32 v6, v147, s[8:9] offset:264          // 00000000F098: DD348108 00089306
	s_mov_b64 exec, s[36:37]                                   // 00000000F0A0: BEFE0124
	v_mov_b32_e32 v6, v80                                      // 00000000F0A4: 7E0C0350
	s_mov_b64 s[60:61], 0                                      // 00000000F0A8: BEBC0180
	v_readlane_b32 s82, v3, 32                                 // 00000000F0AC: D2890052 00014103
	s_and_b32 s82, s82, 0xffffff                               // 00000000F0B4: 8652FF52 00FFFFFF
	s_cmp_lt_u32 s82, s66                                      // 00000000F0BC: BF0A4252
	s_cselect_b32 s20, s36, s60                                // 00000000F0C0: 85143C24
	v_readlane_b32 s82, v3, 33                                 // 00000000F0C4: D2890052 00014303
	s_and_b32 s82, s82, 0xffffff                               // 00000000F0CC: 8652FF52 00FFFFFF
	s_cmp_lt_u32 s82, s66                                      // 00000000F0D4: BF0A4252
	s_cselect_b32 s21, s36, s60                                // 00000000F0D8: 85153C24
	s_mov_b64 exec, s[20:21]                                   // 00000000F0DC: BEFE0114
	global_atomic_add_f32 v6, v150, s[8:9] offset:8            // 00000000F0E0: DD348008 00089606
	global_atomic_add_f32 v6, v154, s[8:9] offset:264          // 00000000F0E8: DD348108 00089A06
	s_mov_b64 exec, s[36:37]                                   // 00000000F0F0: BEFE0124
	v_mov_b32_e32 v6, v81                                      // 00000000F0F4: 7E0C0351
	s_mov_b64 s[60:61], 0                                      // 00000000F0F8: BEBC0180
	v_readlane_b32 s82, v3, 34                                 // 00000000F0FC: D2890052 00014503
	s_and_b32 s82, s82, 0xffffff                               // 00000000F104: 8652FF52 00FFFFFF
	s_cmp_lt_u32 s82, s66                                      // 00000000F10C: BF0A4252
	s_cselect_b32 s20, s36, s60                                // 00000000F110: 85143C24
	v_readlane_b32 s82, v3, 35                                 // 00000000F114: D2890052 00014703
	s_and_b32 s82, s82, 0xffffff                               // 00000000F11C: 8652FF52 00FFFFFF
	s_cmp_lt_u32 s82, s66                                      // 00000000F124: BF0A4252
	s_cselect_b32 s21, s36, s60                                // 00000000F128: 85153C24
	s_mov_b64 exec, s[20:21]                                   // 00000000F12C: BEFE0114
	global_atomic_add_f32 v6, v151, s[8:9] offset:8            // 00000000F130: DD348008 00089706
	global_atomic_add_f32 v6, v155, s[8:9] offset:264          // 00000000F138: DD348108 00089B06
	s_mov_b64 exec, s[36:37]                                   // 00000000F140: BEFE0124
	ds_write_b64 v20, v[156:157]                               // 00000000F144: D89A0000 00009C14
	ds_write_b64 v20, v[160:161] offset:4352                   // 00000000F14C: D89A1100 0000A014
	ds_write_b64 v20, v[164:165] offset:8704                   // 00000000F154: D89A2200 0000A414
	ds_write_b64 v20, v[168:169] offset:13056                  // 00000000F15C: D89A3300 0000A814
	ds_write_b64 v20, v[172:173] offset:17408                  // 00000000F164: D89A4400 0000AC14
	ds_write_b64 v20, v[176:177] offset:21760                  // 00000000F16C: D89A5500 0000B014
	ds_write_b64 v20, v[180:181] offset:26112                  // 00000000F174: D89A6600 0000B414
	ds_write_b64 v20, v[184:185] offset:30464                  // 00000000F17C: D89A7700 0000B814
	ds_write_b64 v20, v[188:189] offset:34816                  // 00000000F184: D89A8800 0000BC14
	ds_write_b64 v20, v[192:193] offset:2176                   // 00000000F18C: D89A0880 0000C014
	ds_write_b64 v20, v[196:197] offset:6528                   // 00000000F194: D89A1980 0000C414
	ds_write_b64 v20, v[200:201] offset:10880                  // 00000000F19C: D89A2A80 0000C814
	ds_write_b64 v20, v[204:205] offset:15232                  // 00000000F1A4: D89A3B80 0000CC14
	ds_write_b64 v20, v[208:209] offset:19584                  // 00000000F1AC: D89A4C80 0000D014
	ds_write_b64 v20, v[212:213] offset:23936                  // 00000000F1B4: D89A5D80 0000D414
	ds_write_b64 v20, v[216:217] offset:28288                  // 00000000F1BC: D89A6E80 0000D814
	ds_write_b64 v20, v[220:221] offset:32640                  // 00000000F1C4: D89A7F80 0000DC14
	ds_write_b64 v20, v[224:225] offset:36992                  // 00000000F1CC: D89A9080 0000E014
	s_waitcnt lgkmcnt(0)                                       // 00000000F1D4: BF8CC07F
	s_barrier                                                  // 00000000F1D8: BF8A0000
	ds_read_b32 v156, v21                                      // 00000000F1DC: D86C0000 9C000015
	ds_read_b32 v157, v21 offset:64                            // 00000000F1E4: D86C0040 9D000015
	ds_read_b32 v160, v21 offset:2176                          // 00000000F1EC: D86C0880 A0000015
	ds_read_b32 v161, v21 offset:2240                          // 00000000F1F4: D86C08C0 A1000015
	ds_read_b32 v164, v21 offset:4352                          // 00000000F1FC: D86C1100 A4000015
	ds_read_b32 v165, v21 offset:4416                          // 00000000F204: D86C1140 A5000015
	ds_read_b32 v168, v21 offset:6528                          // 00000000F20C: D86C1980 A8000015
	ds_read_b32 v169, v21 offset:6592                          // 00000000F214: D86C19C0 A9000015
	ds_read_b32 v172, v21 offset:8704                          // 00000000F21C: D86C2200 AC000015
	ds_read_b32 v173, v21 offset:8768                          // 00000000F224: D86C2240 AD000015
	ds_read_b32 v176, v21 offset:10880                         // 00000000F22C: D86C2A80 B0000015
	ds_read_b32 v177, v21 offset:10944                         // 00000000F234: D86C2AC0 B1000015
	ds_read_b32 v180, v21 offset:13056                         // 00000000F23C: D86C3300 B4000015
	ds_read_b32 v181, v21 offset:13120                         // 00000000F244: D86C3340 B5000015
	ds_read_b32 v184, v21 offset:15232                         // 00000000F24C: D86C3B80 B8000015
	ds_read_b32 v185, v21 offset:15296                         // 00000000F254: D86C3BC0 B9000015
	ds_read_b32 v188, v21 offset:17408                         // 00000000F25C: D86C4400 BC000015
	ds_read_b32 v189, v21 offset:17472                         // 00000000F264: D86C4440 BD000015
	ds_read_b32 v192, v21 offset:19584                         // 00000000F26C: D86C4C80 C0000015
	ds_read_b32 v193, v21 offset:19648                         // 00000000F274: D86C4CC0 C1000015
	ds_read_b32 v196, v21 offset:21760                         // 00000000F27C: D86C5500 C4000015
	ds_read_b32 v197, v21 offset:21824                         // 00000000F284: D86C5540 C5000015
	ds_read_b32 v200, v21 offset:23936                         // 00000000F28C: D86C5D80 C8000015
	ds_read_b32 v201, v21 offset:24000                         // 00000000F294: D86C5DC0 C9000015
	ds_read_b32 v204, v21 offset:26112                         // 00000000F29C: D86C6600 CC000015
	ds_read_b32 v205, v21 offset:26176                         // 00000000F2A4: D86C6640 CD000015
	ds_read_b32 v208, v21 offset:28288                         // 00000000F2AC: D86C6E80 D0000015
	ds_read_b32 v209, v21 offset:28352                         // 00000000F2B4: D86C6EC0 D1000015
	ds_read_b32 v212, v21 offset:30464                         // 00000000F2BC: D86C7700 D4000015
	ds_read_b32 v213, v21 offset:30528                         // 00000000F2C4: D86C7740 D5000015
	ds_read_b32 v216, v21 offset:32640                         // 00000000F2CC: D86C7F80 D8000015
	ds_read_b32 v217, v21 offset:32704                         // 00000000F2D4: D86C7FC0 D9000015
	ds_read_b32 v220, v21 offset:34816                         // 00000000F2DC: D86C8800 DC000015
	ds_read_b32 v221, v21 offset:34880                         // 00000000F2E4: D86C8840 DD000015
	ds_read_b32 v224, v21 offset:36992                         // 00000000F2EC: D86C9080 E0000015
	ds_read_b32 v225, v21 offset:37056                         // 00000000F2F4: D86C90C0 E1000015
	s_mul_i32 s60, s65, 4                                      // 00000000F2FC: 923C8441
	s_add_u32 s8, s60, s8                                      // 00000000F300: 8008083C
	s_addc_u32 s9, 0, s9                                       // 00000000F304: 82090980
	s_waitcnt lgkmcnt(0)                                       // 00000000F308: BF8CC07F
	v_mov_b32_e32 v7, 0                                        // 00000000F30C: 7E0E0280
	s_mov_b64 exec, s[36:37]                                   // 00000000F310: BEFE0124
	v_mov_b32_e32 v6, v64                                      // 00000000F314: 7E0C0340
	s_mov_b64 s[60:61], 0                                      // 00000000F318: BEBC0180
	v_readlane_b32 s82, v3, 0                                  // 00000000F31C: D2890052 00010103
	s_and_b32 s82, s82, 0xffffff                               // 00000000F324: 8652FF52 00FFFFFF
	s_cmp_lt_u32 s82, s66                                      // 00000000F32C: BF0A4252
	s_cselect_b32 s20, s36, s60                                // 00000000F330: 85143C24
	v_readlane_b32 s82, v3, 1                                  // 00000000F334: D2890052 00010303
	s_and_b32 s82, s82, 0xffffff                               // 00000000F33C: 8652FF52 00FFFFFF
	s_cmp_lt_u32 s82, s66                                      // 00000000F344: BF0A4252
	s_cselect_b32 s21, s36, s60                                // 00000000F348: 85153C24
	s_mov_b64 exec, s[20:21]                                   // 00000000F34C: BEFE0114
	global_atomic_add_f32 v6, v156, s[8:9]                     // 00000000F350: DD348000 00089C06
	global_atomic_add_f32 v6, v160, s[8:9] offset:256          // 00000000F358: DD348100 0008A006
	s_mov_b64 exec, s[36:37]                                   // 00000000F360: BEFE0124
	v_mov_b32_e32 v6, v65                                      // 00000000F364: 7E0C0341
	s_mov_b64 s[60:61], 0                                      // 00000000F368: BEBC0180
	v_readlane_b32 s82, v3, 2                                  // 00000000F36C: D2890052 00010503
	s_and_b32 s82, s82, 0xffffff                               // 00000000F374: 8652FF52 00FFFFFF
	s_cmp_lt_u32 s82, s66                                      // 00000000F37C: BF0A4252
	s_cselect_b32 s20, s36, s60                                // 00000000F380: 85143C24
	v_readlane_b32 s82, v3, 3                                  // 00000000F384: D2890052 00010703
	s_and_b32 s82, s82, 0xffffff                               // 00000000F38C: 8652FF52 00FFFFFF
	s_cmp_lt_u32 s82, s66                                      // 00000000F394: BF0A4252
	s_cselect_b32 s21, s36, s60                                // 00000000F398: 85153C24
	s_mov_b64 exec, s[20:21]                                   // 00000000F39C: BEFE0114
	global_atomic_add_f32 v6, v157, s[8:9]                     // 00000000F3A0: DD348000 00089D06
	global_atomic_add_f32 v6, v161, s[8:9] offset:256          // 00000000F3A8: DD348100 0008A106
	s_mov_b64 exec, s[36:37]                                   // 00000000F3B0: BEFE0124
	v_mov_b32_e32 v6, v66                                      // 00000000F3B4: 7E0C0342
	s_mov_b64 s[60:61], 0                                      // 00000000F3B8: BEBC0180
	v_readlane_b32 s82, v3, 4                                  // 00000000F3BC: D2890052 00010903
	s_and_b32 s82, s82, 0xffffff                               // 00000000F3C4: 8652FF52 00FFFFFF
	s_cmp_lt_u32 s82, s66                                      // 00000000F3CC: BF0A4252
	s_cselect_b32 s20, s36, s60                                // 00000000F3D0: 85143C24
	v_readlane_b32 s82, v3, 5                                  // 00000000F3D4: D2890052 00010B03
	s_and_b32 s82, s82, 0xffffff                               // 00000000F3DC: 8652FF52 00FFFFFF
	s_cmp_lt_u32 s82, s66                                      // 00000000F3E4: BF0A4252
	s_cselect_b32 s21, s36, s60                                // 00000000F3E8: 85153C24
	s_mov_b64 exec, s[20:21]                                   // 00000000F3EC: BEFE0114
	global_atomic_add_f32 v6, v164, s[8:9]                     // 00000000F3F0: DD348000 0008A406
	global_atomic_add_f32 v6, v168, s[8:9] offset:256          // 00000000F3F8: DD348100 0008A806
	s_mov_b64 exec, s[36:37]                                   // 00000000F400: BEFE0124
	v_mov_b32_e32 v6, v67                                      // 00000000F404: 7E0C0343
	s_mov_b64 s[60:61], 0                                      // 00000000F408: BEBC0180
	v_readlane_b32 s82, v3, 6                                  // 00000000F40C: D2890052 00010D03
	s_and_b32 s82, s82, 0xffffff                               // 00000000F414: 8652FF52 00FFFFFF
	s_cmp_lt_u32 s82, s66                                      // 00000000F41C: BF0A4252
	s_cselect_b32 s20, s36, s60                                // 00000000F420: 85143C24
	v_readlane_b32 s82, v3, 7                                  // 00000000F424: D2890052 00010F03
	s_and_b32 s82, s82, 0xffffff                               // 00000000F42C: 8652FF52 00FFFFFF
	s_cmp_lt_u32 s82, s66                                      // 00000000F434: BF0A4252
	s_cselect_b32 s21, s36, s60                                // 00000000F438: 85153C24
	s_mov_b64 exec, s[20:21]                                   // 00000000F43C: BEFE0114
	global_atomic_add_f32 v6, v165, s[8:9]                     // 00000000F440: DD348000 0008A506
	global_atomic_add_f32 v6, v169, s[8:9] offset:256          // 00000000F448: DD348100 0008A906
	s_mov_b64 exec, s[36:37]                                   // 00000000F450: BEFE0124
	v_mov_b32_e32 v6, v68                                      // 00000000F454: 7E0C0344
	s_mov_b64 s[60:61], 0                                      // 00000000F458: BEBC0180
	v_readlane_b32 s82, v3, 8                                  // 00000000F45C: D2890052 00011103
	s_and_b32 s82, s82, 0xffffff                               // 00000000F464: 8652FF52 00FFFFFF
	s_cmp_lt_u32 s82, s66                                      // 00000000F46C: BF0A4252
	s_cselect_b32 s20, s36, s60                                // 00000000F470: 85143C24
	v_readlane_b32 s82, v3, 9                                  // 00000000F474: D2890052 00011303
	s_and_b32 s82, s82, 0xffffff                               // 00000000F47C: 8652FF52 00FFFFFF
	s_cmp_lt_u32 s82, s66                                      // 00000000F484: BF0A4252
	s_cselect_b32 s21, s36, s60                                // 00000000F488: 85153C24
	s_mov_b64 exec, s[20:21]                                   // 00000000F48C: BEFE0114
	global_atomic_add_f32 v6, v172, s[8:9]                     // 00000000F490: DD348000 0008AC06
	global_atomic_add_f32 v6, v176, s[8:9] offset:256          // 00000000F498: DD348100 0008B006
	s_mov_b64 exec, s[36:37]                                   // 00000000F4A0: BEFE0124
	v_mov_b32_e32 v6, v69                                      // 00000000F4A4: 7E0C0345
	s_mov_b64 s[60:61], 0                                      // 00000000F4A8: BEBC0180
	v_readlane_b32 s82, v3, 10                                 // 00000000F4AC: D2890052 00011503
	s_and_b32 s82, s82, 0xffffff                               // 00000000F4B4: 8652FF52 00FFFFFF
	s_cmp_lt_u32 s82, s66                                      // 00000000F4BC: BF0A4252
	s_cselect_b32 s20, s36, s60                                // 00000000F4C0: 85143C24
	v_readlane_b32 s82, v3, 11                                 // 00000000F4C4: D2890052 00011703
	s_and_b32 s82, s82, 0xffffff                               // 00000000F4CC: 8652FF52 00FFFFFF
	s_cmp_lt_u32 s82, s66                                      // 00000000F4D4: BF0A4252
	s_cselect_b32 s21, s36, s60                                // 00000000F4D8: 85153C24
	s_mov_b64 exec, s[20:21]                                   // 00000000F4DC: BEFE0114
	global_atomic_add_f32 v6, v173, s[8:9]                     // 00000000F4E0: DD348000 0008AD06
	global_atomic_add_f32 v6, v177, s[8:9] offset:256          // 00000000F4E8: DD348100 0008B106
	s_mov_b64 exec, s[36:37]                                   // 00000000F4F0: BEFE0124
	v_mov_b32_e32 v6, v70                                      // 00000000F4F4: 7E0C0346
	s_mov_b64 s[60:61], 0                                      // 00000000F4F8: BEBC0180
	v_readlane_b32 s82, v3, 12                                 // 00000000F4FC: D2890052 00011903
	s_and_b32 s82, s82, 0xffffff                               // 00000000F504: 8652FF52 00FFFFFF
	s_cmp_lt_u32 s82, s66                                      // 00000000F50C: BF0A4252
	s_cselect_b32 s20, s36, s60                                // 00000000F510: 85143C24
	v_readlane_b32 s82, v3, 13                                 // 00000000F514: D2890052 00011B03
	s_and_b32 s82, s82, 0xffffff                               // 00000000F51C: 8652FF52 00FFFFFF
	s_cmp_lt_u32 s82, s66                                      // 00000000F524: BF0A4252
	s_cselect_b32 s21, s36, s60                                // 00000000F528: 85153C24
	s_mov_b64 exec, s[20:21]                                   // 00000000F52C: BEFE0114
	global_atomic_add_f32 v6, v180, s[8:9]                     // 00000000F530: DD348000 0008B406
	global_atomic_add_f32 v6, v184, s[8:9] offset:256          // 00000000F538: DD348100 0008B806
	s_mov_b64 exec, s[36:37]                                   // 00000000F540: BEFE0124
	v_mov_b32_e32 v6, v71                                      // 00000000F544: 7E0C0347
	s_mov_b64 s[60:61], 0                                      // 00000000F548: BEBC0180
	v_readlane_b32 s82, v3, 14                                 // 00000000F54C: D2890052 00011D03
	s_and_b32 s82, s82, 0xffffff                               // 00000000F554: 8652FF52 00FFFFFF
	s_cmp_lt_u32 s82, s66                                      // 00000000F55C: BF0A4252
	s_cselect_b32 s20, s36, s60                                // 00000000F560: 85143C24
	v_readlane_b32 s82, v3, 15                                 // 00000000F564: D2890052 00011F03
	s_and_b32 s82, s82, 0xffffff                               // 00000000F56C: 8652FF52 00FFFFFF
	s_cmp_lt_u32 s82, s66                                      // 00000000F574: BF0A4252
	s_cselect_b32 s21, s36, s60                                // 00000000F578: 85153C24
	s_mov_b64 exec, s[20:21]                                   // 00000000F57C: BEFE0114
	global_atomic_add_f32 v6, v181, s[8:9]                     // 00000000F580: DD348000 0008B506
	global_atomic_add_f32 v6, v185, s[8:9] offset:256          // 00000000F588: DD348100 0008B906
	s_mov_b64 exec, s[36:37]                                   // 00000000F590: BEFE0124
	v_mov_b32_e32 v6, v72                                      // 00000000F594: 7E0C0348
	s_mov_b64 s[60:61], 0                                      // 00000000F598: BEBC0180
	v_readlane_b32 s82, v3, 16                                 // 00000000F59C: D2890052 00012103
	s_and_b32 s82, s82, 0xffffff                               // 00000000F5A4: 8652FF52 00FFFFFF
	s_cmp_lt_u32 s82, s66                                      // 00000000F5AC: BF0A4252
	s_cselect_b32 s20, s36, s60                                // 00000000F5B0: 85143C24
	v_readlane_b32 s82, v3, 17                                 // 00000000F5B4: D2890052 00012303
	s_and_b32 s82, s82, 0xffffff                               // 00000000F5BC: 8652FF52 00FFFFFF
	s_cmp_lt_u32 s82, s66                                      // 00000000F5C4: BF0A4252
	s_cselect_b32 s21, s36, s60                                // 00000000F5C8: 85153C24
	s_mov_b64 exec, s[20:21]                                   // 00000000F5CC: BEFE0114
	global_atomic_add_f32 v6, v188, s[8:9]                     // 00000000F5D0: DD348000 0008BC06
	global_atomic_add_f32 v6, v192, s[8:9] offset:256          // 00000000F5D8: DD348100 0008C006
	s_mov_b64 exec, s[36:37]                                   // 00000000F5E0: BEFE0124
	v_mov_b32_e32 v6, v73                                      // 00000000F5E4: 7E0C0349
	s_mov_b64 s[60:61], 0                                      // 00000000F5E8: BEBC0180
	v_readlane_b32 s82, v3, 18                                 // 00000000F5EC: D2890052 00012503
	s_and_b32 s82, s82, 0xffffff                               // 00000000F5F4: 8652FF52 00FFFFFF
	s_cmp_lt_u32 s82, s66                                      // 00000000F5FC: BF0A4252
	s_cselect_b32 s20, s36, s60                                // 00000000F600: 85143C24
	v_readlane_b32 s82, v3, 19                                 // 00000000F604: D2890052 00012703
	s_and_b32 s82, s82, 0xffffff                               // 00000000F60C: 8652FF52 00FFFFFF
	s_cmp_lt_u32 s82, s66                                      // 00000000F614: BF0A4252
	s_cselect_b32 s21, s36, s60                                // 00000000F618: 85153C24
	s_mov_b64 exec, s[20:21]                                   // 00000000F61C: BEFE0114
	global_atomic_add_f32 v6, v189, s[8:9]                     // 00000000F620: DD348000 0008BD06
	global_atomic_add_f32 v6, v193, s[8:9] offset:256          // 00000000F628: DD348100 0008C106
	s_mov_b64 exec, s[36:37]                                   // 00000000F630: BEFE0124
	v_mov_b32_e32 v6, v74                                      // 00000000F634: 7E0C034A
	s_mov_b64 s[60:61], 0                                      // 00000000F638: BEBC0180
	v_readlane_b32 s82, v3, 20                                 // 00000000F63C: D2890052 00012903
	s_and_b32 s82, s82, 0xffffff                               // 00000000F644: 8652FF52 00FFFFFF
	s_cmp_lt_u32 s82, s66                                      // 00000000F64C: BF0A4252
	s_cselect_b32 s20, s36, s60                                // 00000000F650: 85143C24
	v_readlane_b32 s82, v3, 21                                 // 00000000F654: D2890052 00012B03
	s_and_b32 s82, s82, 0xffffff                               // 00000000F65C: 8652FF52 00FFFFFF
	s_cmp_lt_u32 s82, s66                                      // 00000000F664: BF0A4252
	s_cselect_b32 s21, s36, s60                                // 00000000F668: 85153C24
	s_mov_b64 exec, s[20:21]                                   // 00000000F66C: BEFE0114
	global_atomic_add_f32 v6, v196, s[8:9]                     // 00000000F670: DD348000 0008C406
	global_atomic_add_f32 v6, v200, s[8:9] offset:256          // 00000000F678: DD348100 0008C806
	s_mov_b64 exec, s[36:37]                                   // 00000000F680: BEFE0124
	v_mov_b32_e32 v6, v75                                      // 00000000F684: 7E0C034B
	s_mov_b64 s[60:61], 0                                      // 00000000F688: BEBC0180
	v_readlane_b32 s82, v3, 22                                 // 00000000F68C: D2890052 00012D03
	s_and_b32 s82, s82, 0xffffff                               // 00000000F694: 8652FF52 00FFFFFF
	s_cmp_lt_u32 s82, s66                                      // 00000000F69C: BF0A4252
	s_cselect_b32 s20, s36, s60                                // 00000000F6A0: 85143C24
	v_readlane_b32 s82, v3, 23                                 // 00000000F6A4: D2890052 00012F03
	s_and_b32 s82, s82, 0xffffff                               // 00000000F6AC: 8652FF52 00FFFFFF
	s_cmp_lt_u32 s82, s66                                      // 00000000F6B4: BF0A4252
	s_cselect_b32 s21, s36, s60                                // 00000000F6B8: 85153C24
	s_mov_b64 exec, s[20:21]                                   // 00000000F6BC: BEFE0114
	global_atomic_add_f32 v6, v197, s[8:9]                     // 00000000F6C0: DD348000 0008C506
	global_atomic_add_f32 v6, v201, s[8:9] offset:256          // 00000000F6C8: DD348100 0008C906
	s_mov_b64 exec, s[36:37]                                   // 00000000F6D0: BEFE0124
	v_mov_b32_e32 v6, v76                                      // 00000000F6D4: 7E0C034C
	s_mov_b64 s[60:61], 0                                      // 00000000F6D8: BEBC0180
	v_readlane_b32 s82, v3, 24                                 // 00000000F6DC: D2890052 00013103
	s_and_b32 s82, s82, 0xffffff                               // 00000000F6E4: 8652FF52 00FFFFFF
	s_cmp_lt_u32 s82, s66                                      // 00000000F6EC: BF0A4252
	s_cselect_b32 s20, s36, s60                                // 00000000F6F0: 85143C24
	v_readlane_b32 s82, v3, 25                                 // 00000000F6F4: D2890052 00013303
	s_and_b32 s82, s82, 0xffffff                               // 00000000F6FC: 8652FF52 00FFFFFF
	s_cmp_lt_u32 s82, s66                                      // 00000000F704: BF0A4252
	s_cselect_b32 s21, s36, s60                                // 00000000F708: 85153C24
	s_mov_b64 exec, s[20:21]                                   // 00000000F70C: BEFE0114
	global_atomic_add_f32 v6, v204, s[8:9]                     // 00000000F710: DD348000 0008CC06
	global_atomic_add_f32 v6, v208, s[8:9] offset:256          // 00000000F718: DD348100 0008D006
	s_mov_b64 exec, s[36:37]                                   // 00000000F720: BEFE0124
	v_mov_b32_e32 v6, v77                                      // 00000000F724: 7E0C034D
	s_mov_b64 s[60:61], 0                                      // 00000000F728: BEBC0180
	v_readlane_b32 s82, v3, 26                                 // 00000000F72C: D2890052 00013503
	s_and_b32 s82, s82, 0xffffff                               // 00000000F734: 8652FF52 00FFFFFF
	s_cmp_lt_u32 s82, s66                                      // 00000000F73C: BF0A4252
	s_cselect_b32 s20, s36, s60                                // 00000000F740: 85143C24
	v_readlane_b32 s82, v3, 27                                 // 00000000F744: D2890052 00013703
	s_and_b32 s82, s82, 0xffffff                               // 00000000F74C: 8652FF52 00FFFFFF
	s_cmp_lt_u32 s82, s66                                      // 00000000F754: BF0A4252
	s_cselect_b32 s21, s36, s60                                // 00000000F758: 85153C24
	s_mov_b64 exec, s[20:21]                                   // 00000000F75C: BEFE0114
	global_atomic_add_f32 v6, v205, s[8:9]                     // 00000000F760: DD348000 0008CD06
	global_atomic_add_f32 v6, v209, s[8:9] offset:256          // 00000000F768: DD348100 0008D106
	s_mov_b64 exec, s[36:37]                                   // 00000000F770: BEFE0124
	v_mov_b32_e32 v6, v78                                      // 00000000F774: 7E0C034E
	s_mov_b64 s[60:61], 0                                      // 00000000F778: BEBC0180
	v_readlane_b32 s82, v3, 28                                 // 00000000F77C: D2890052 00013903
	s_and_b32 s82, s82, 0xffffff                               // 00000000F784: 8652FF52 00FFFFFF
	s_cmp_lt_u32 s82, s66                                      // 00000000F78C: BF0A4252
	s_cselect_b32 s20, s36, s60                                // 00000000F790: 85143C24
	v_readlane_b32 s82, v3, 29                                 // 00000000F794: D2890052 00013B03
	s_and_b32 s82, s82, 0xffffff                               // 00000000F79C: 8652FF52 00FFFFFF
	s_cmp_lt_u32 s82, s66                                      // 00000000F7A4: BF0A4252
	s_cselect_b32 s21, s36, s60                                // 00000000F7A8: 85153C24
	s_mov_b64 exec, s[20:21]                                   // 00000000F7AC: BEFE0114
	global_atomic_add_f32 v6, v212, s[8:9]                     // 00000000F7B0: DD348000 0008D406
	global_atomic_add_f32 v6, v216, s[8:9] offset:256          // 00000000F7B8: DD348100 0008D806
	s_mov_b64 exec, s[36:37]                                   // 00000000F7C0: BEFE0124
	v_mov_b32_e32 v6, v79                                      // 00000000F7C4: 7E0C034F
	s_mov_b64 s[60:61], 0                                      // 00000000F7C8: BEBC0180
	v_readlane_b32 s82, v3, 30                                 // 00000000F7CC: D2890052 00013D03
	s_and_b32 s82, s82, 0xffffff                               // 00000000F7D4: 8652FF52 00FFFFFF
	s_cmp_lt_u32 s82, s66                                      // 00000000F7DC: BF0A4252
	s_cselect_b32 s20, s36, s60                                // 00000000F7E0: 85143C24
	v_readlane_b32 s82, v3, 31                                 // 00000000F7E4: D2890052 00013F03
	s_and_b32 s82, s82, 0xffffff                               // 00000000F7EC: 8652FF52 00FFFFFF
	s_cmp_lt_u32 s82, s66                                      // 00000000F7F4: BF0A4252
	s_cselect_b32 s21, s36, s60                                // 00000000F7F8: 85153C24
	s_mov_b64 exec, s[20:21]                                   // 00000000F7FC: BEFE0114
	global_atomic_add_f32 v6, v213, s[8:9]                     // 00000000F800: DD348000 0008D506
	global_atomic_add_f32 v6, v217, s[8:9] offset:256          // 00000000F808: DD348100 0008D906
	s_mov_b64 exec, s[36:37]                                   // 00000000F810: BEFE0124
	v_mov_b32_e32 v6, v80                                      // 00000000F814: 7E0C0350
	s_mov_b64 s[60:61], 0                                      // 00000000F818: BEBC0180
	v_readlane_b32 s82, v3, 32                                 // 00000000F81C: D2890052 00014103
	s_and_b32 s82, s82, 0xffffff                               // 00000000F824: 8652FF52 00FFFFFF
	s_cmp_lt_u32 s82, s66                                      // 00000000F82C: BF0A4252
	s_cselect_b32 s20, s36, s60                                // 00000000F830: 85143C24
	v_readlane_b32 s82, v3, 33                                 // 00000000F834: D2890052 00014303
	s_and_b32 s82, s82, 0xffffff                               // 00000000F83C: 8652FF52 00FFFFFF
	s_cmp_lt_u32 s82, s66                                      // 00000000F844: BF0A4252
	s_cselect_b32 s21, s36, s60                                // 00000000F848: 85153C24
	s_mov_b64 exec, s[20:21]                                   // 00000000F84C: BEFE0114
	global_atomic_add_f32 v6, v220, s[8:9]                     // 00000000F850: DD348000 0008DC06
	global_atomic_add_f32 v6, v224, s[8:9] offset:256          // 00000000F858: DD348100 0008E006
	s_mov_b64 exec, s[36:37]                                   // 00000000F860: BEFE0124
	v_mov_b32_e32 v6, v81                                      // 00000000F864: 7E0C0351
	s_mov_b64 s[60:61], 0                                      // 00000000F868: BEBC0180
	v_readlane_b32 s82, v3, 34                                 // 00000000F86C: D2890052 00014503
	s_and_b32 s82, s82, 0xffffff                               // 00000000F874: 8652FF52 00FFFFFF
	s_cmp_lt_u32 s82, s66                                      // 00000000F87C: BF0A4252
	s_cselect_b32 s20, s36, s60                                // 00000000F880: 85143C24
	v_readlane_b32 s82, v3, 35                                 // 00000000F884: D2890052 00014703
	s_and_b32 s82, s82, 0xffffff                               // 00000000F88C: 8652FF52 00FFFFFF
	s_cmp_lt_u32 s82, s66                                      // 00000000F894: BF0A4252
	s_cselect_b32 s21, s36, s60                                // 00000000F898: 85153C24
	s_mov_b64 exec, s[20:21]                                   // 00000000F89C: BEFE0114
	global_atomic_add_f32 v6, v221, s[8:9]                     // 00000000F8A0: DD348000 0008DD06
	global_atomic_add_f32 v6, v225, s[8:9] offset:256          // 00000000F8A8: DD348100 0008E106
	s_mov_b64 exec, s[36:37]                                   // 00000000F8B0: BEFE0124
	ds_write_b64 v20, v[158:159]                               // 00000000F8B4: D89A0000 00009E14
	ds_write_b64 v20, v[162:163] offset:4352                   // 00000000F8BC: D89A1100 0000A214
	ds_write_b64 v20, v[166:167] offset:8704                   // 00000000F8C4: D89A2200 0000A614
	ds_write_b64 v20, v[170:171] offset:13056                  // 00000000F8CC: D89A3300 0000AA14
	ds_write_b64 v20, v[174:175] offset:17408                  // 00000000F8D4: D89A4400 0000AE14
	ds_write_b64 v20, v[178:179] offset:21760                  // 00000000F8DC: D89A5500 0000B214
	ds_write_b64 v20, v[182:183] offset:26112                  // 00000000F8E4: D89A6600 0000B614
	ds_write_b64 v20, v[186:187] offset:30464                  // 00000000F8EC: D89A7700 0000BA14
	ds_write_b64 v20, v[190:191] offset:34816                  // 00000000F8F4: D89A8800 0000BE14
	ds_write_b64 v20, v[194:195] offset:2176                   // 00000000F8FC: D89A0880 0000C214
	ds_write_b64 v20, v[198:199] offset:6528                   // 00000000F904: D89A1980 0000C614
	ds_write_b64 v20, v[202:203] offset:10880                  // 00000000F90C: D89A2A80 0000CA14
	ds_write_b64 v20, v[206:207] offset:15232                  // 00000000F914: D89A3B80 0000CE14
	ds_write_b64 v20, v[210:211] offset:19584                  // 00000000F91C: D89A4C80 0000D214
	ds_write_b64 v20, v[214:215] offset:23936                  // 00000000F924: D89A5D80 0000D614
	ds_write_b64 v20, v[218:219] offset:28288                  // 00000000F92C: D89A6E80 0000DA14
	ds_write_b64 v20, v[222:223] offset:32640                  // 00000000F934: D89A7F80 0000DE14
	ds_write_b64 v20, v[226:227] offset:36992                  // 00000000F93C: D89A9080 0000E214
	s_waitcnt lgkmcnt(0)                                       // 00000000F944: BF8CC07F
	s_barrier                                                  // 00000000F948: BF8A0000
	ds_read_b32 v158, v21                                      // 00000000F94C: D86C0000 9E000015
	ds_read_b32 v159, v21 offset:64                            // 00000000F954: D86C0040 9F000015
	ds_read_b32 v162, v21 offset:2176                          // 00000000F95C: D86C0880 A2000015
	ds_read_b32 v163, v21 offset:2240                          // 00000000F964: D86C08C0 A3000015
	ds_read_b32 v166, v21 offset:4352                          // 00000000F96C: D86C1100 A6000015
	ds_read_b32 v167, v21 offset:4416                          // 00000000F974: D86C1140 A7000015
	ds_read_b32 v170, v21 offset:6528                          // 00000000F97C: D86C1980 AA000015
	ds_read_b32 v171, v21 offset:6592                          // 00000000F984: D86C19C0 AB000015
	ds_read_b32 v174, v21 offset:8704                          // 00000000F98C: D86C2200 AE000015
	ds_read_b32 v175, v21 offset:8768                          // 00000000F994: D86C2240 AF000015
	ds_read_b32 v178, v21 offset:10880                         // 00000000F99C: D86C2A80 B2000015
	ds_read_b32 v179, v21 offset:10944                         // 00000000F9A4: D86C2AC0 B3000015
	ds_read_b32 v182, v21 offset:13056                         // 00000000F9AC: D86C3300 B6000015
	ds_read_b32 v183, v21 offset:13120                         // 00000000F9B4: D86C3340 B7000015
	ds_read_b32 v186, v21 offset:15232                         // 00000000F9BC: D86C3B80 BA000015
	ds_read_b32 v187, v21 offset:15296                         // 00000000F9C4: D86C3BC0 BB000015
	ds_read_b32 v190, v21 offset:17408                         // 00000000F9CC: D86C4400 BE000015
	ds_read_b32 v191, v21 offset:17472                         // 00000000F9D4: D86C4440 BF000015
	ds_read_b32 v194, v21 offset:19584                         // 00000000F9DC: D86C4C80 C2000015
	ds_read_b32 v195, v21 offset:19648                         // 00000000F9E4: D86C4CC0 C3000015
	ds_read_b32 v198, v21 offset:21760                         // 00000000F9EC: D86C5500 C6000015
	ds_read_b32 v199, v21 offset:21824                         // 00000000F9F4: D86C5540 C7000015
	ds_read_b32 v202, v21 offset:23936                         // 00000000F9FC: D86C5D80 CA000015
	ds_read_b32 v203, v21 offset:24000                         // 00000000FA04: D86C5DC0 CB000015
	ds_read_b32 v206, v21 offset:26112                         // 00000000FA0C: D86C6600 CE000015
	ds_read_b32 v207, v21 offset:26176                         // 00000000FA14: D86C6640 CF000015
	ds_read_b32 v210, v21 offset:28288                         // 00000000FA1C: D86C6E80 D2000015
	ds_read_b32 v211, v21 offset:28352                         // 00000000FA24: D86C6EC0 D3000015
	ds_read_b32 v214, v21 offset:30464                         // 00000000FA2C: D86C7700 D6000015
	ds_read_b32 v215, v21 offset:30528                         // 00000000FA34: D86C7740 D7000015
	ds_read_b32 v218, v21 offset:32640                         // 00000000FA3C: D86C7F80 DA000015
	ds_read_b32 v219, v21 offset:32704                         // 00000000FA44: D86C7FC0 DB000015
	ds_read_b32 v222, v21 offset:34816                         // 00000000FA4C: D86C8800 DE000015
	ds_read_b32 v223, v21 offset:34880                         // 00000000FA54: D86C8840 DF000015
	ds_read_b32 v226, v21 offset:36992                         // 00000000FA5C: D86C9080 E2000015
	ds_read_b32 v227, v21 offset:37056                         // 00000000FA64: D86C90C0 E3000015
	s_waitcnt lgkmcnt(0)                                       // 00000000FA6C: BF8CC07F
	v_mov_b32_e32 v7, 0                                        // 00000000FA70: 7E0E0280
	s_mov_b64 exec, s[36:37]                                   // 00000000FA74: BEFE0124
	v_mov_b32_e32 v6, v64                                      // 00000000FA78: 7E0C0340
	s_mov_b64 s[60:61], 0                                      // 00000000FA7C: BEBC0180
	v_readlane_b32 s82, v3, 0                                  // 00000000FA80: D2890052 00010103
	s_and_b32 s82, s82, 0xffffff                               // 00000000FA88: 8652FF52 00FFFFFF
	s_cmp_lt_u32 s82, s66                                      // 00000000FA90: BF0A4252
	s_cselect_b32 s20, s36, s60                                // 00000000FA94: 85143C24
	v_readlane_b32 s82, v3, 1                                  // 00000000FA98: D2890052 00010303
	s_and_b32 s82, s82, 0xffffff                               // 00000000FAA0: 8652FF52 00FFFFFF
	s_cmp_lt_u32 s82, s66                                      // 00000000FAA8: BF0A4252
	s_cselect_b32 s21, s36, s60                                // 00000000FAAC: 85153C24
	s_mov_b64 exec, s[20:21]                                   // 00000000FAB0: BEFE0114
	global_atomic_add_f32 v6, v158, s[8:9] offset:8            // 00000000FAB4: DD348008 00089E06
	global_atomic_add_f32 v6, v162, s[8:9] offset:264          // 00000000FABC: DD348108 0008A206
	s_mov_b64 exec, s[36:37]                                   // 00000000FAC4: BEFE0124
	v_mov_b32_e32 v6, v65                                      // 00000000FAC8: 7E0C0341
	s_mov_b64 s[60:61], 0                                      // 00000000FACC: BEBC0180
	v_readlane_b32 s82, v3, 2                                  // 00000000FAD0: D2890052 00010503
	s_and_b32 s82, s82, 0xffffff                               // 00000000FAD8: 8652FF52 00FFFFFF
	s_cmp_lt_u32 s82, s66                                      // 00000000FAE0: BF0A4252
	s_cselect_b32 s20, s36, s60                                // 00000000FAE4: 85143C24
	v_readlane_b32 s82, v3, 3                                  // 00000000FAE8: D2890052 00010703
	s_and_b32 s82, s82, 0xffffff                               // 00000000FAF0: 8652FF52 00FFFFFF
	s_cmp_lt_u32 s82, s66                                      // 00000000FAF8: BF0A4252
	s_cselect_b32 s21, s36, s60                                // 00000000FAFC: 85153C24
	s_mov_b64 exec, s[20:21]                                   // 00000000FB00: BEFE0114
	global_atomic_add_f32 v6, v159, s[8:9] offset:8            // 00000000FB04: DD348008 00089F06
	global_atomic_add_f32 v6, v163, s[8:9] offset:264          // 00000000FB0C: DD348108 0008A306
	s_mov_b64 exec, s[36:37]                                   // 00000000FB14: BEFE0124
	v_mov_b32_e32 v6, v66                                      // 00000000FB18: 7E0C0342
	s_mov_b64 s[60:61], 0                                      // 00000000FB1C: BEBC0180
	v_readlane_b32 s82, v3, 4                                  // 00000000FB20: D2890052 00010903
	s_and_b32 s82, s82, 0xffffff                               // 00000000FB28: 8652FF52 00FFFFFF
	s_cmp_lt_u32 s82, s66                                      // 00000000FB30: BF0A4252
	s_cselect_b32 s20, s36, s60                                // 00000000FB34: 85143C24
	v_readlane_b32 s82, v3, 5                                  // 00000000FB38: D2890052 00010B03
	s_and_b32 s82, s82, 0xffffff                               // 00000000FB40: 8652FF52 00FFFFFF
	s_cmp_lt_u32 s82, s66                                      // 00000000FB48: BF0A4252
	s_cselect_b32 s21, s36, s60                                // 00000000FB4C: 85153C24
	s_mov_b64 exec, s[20:21]                                   // 00000000FB50: BEFE0114
	global_atomic_add_f32 v6, v166, s[8:9] offset:8            // 00000000FB54: DD348008 0008A606
	global_atomic_add_f32 v6, v170, s[8:9] offset:264          // 00000000FB5C: DD348108 0008AA06
	s_mov_b64 exec, s[36:37]                                   // 00000000FB64: BEFE0124
	v_mov_b32_e32 v6, v67                                      // 00000000FB68: 7E0C0343
	s_mov_b64 s[60:61], 0                                      // 00000000FB6C: BEBC0180
	v_readlane_b32 s82, v3, 6                                  // 00000000FB70: D2890052 00010D03
	s_and_b32 s82, s82, 0xffffff                               // 00000000FB78: 8652FF52 00FFFFFF
	s_cmp_lt_u32 s82, s66                                      // 00000000FB80: BF0A4252
	s_cselect_b32 s20, s36, s60                                // 00000000FB84: 85143C24
	v_readlane_b32 s82, v3, 7                                  // 00000000FB88: D2890052 00010F03
	s_and_b32 s82, s82, 0xffffff                               // 00000000FB90: 8652FF52 00FFFFFF
	s_cmp_lt_u32 s82, s66                                      // 00000000FB98: BF0A4252
	s_cselect_b32 s21, s36, s60                                // 00000000FB9C: 85153C24
	s_mov_b64 exec, s[20:21]                                   // 00000000FBA0: BEFE0114
	global_atomic_add_f32 v6, v167, s[8:9] offset:8            // 00000000FBA4: DD348008 0008A706
	global_atomic_add_f32 v6, v171, s[8:9] offset:264          // 00000000FBAC: DD348108 0008AB06
	s_mov_b64 exec, s[36:37]                                   // 00000000FBB4: BEFE0124
	v_mov_b32_e32 v6, v68                                      // 00000000FBB8: 7E0C0344
	s_mov_b64 s[60:61], 0                                      // 00000000FBBC: BEBC0180
	v_readlane_b32 s82, v3, 8                                  // 00000000FBC0: D2890052 00011103
	s_and_b32 s82, s82, 0xffffff                               // 00000000FBC8: 8652FF52 00FFFFFF
	s_cmp_lt_u32 s82, s66                                      // 00000000FBD0: BF0A4252
	s_cselect_b32 s20, s36, s60                                // 00000000FBD4: 85143C24
	v_readlane_b32 s82, v3, 9                                  // 00000000FBD8: D2890052 00011303
	s_and_b32 s82, s82, 0xffffff                               // 00000000FBE0: 8652FF52 00FFFFFF
	s_cmp_lt_u32 s82, s66                                      // 00000000FBE8: BF0A4252
	s_cselect_b32 s21, s36, s60                                // 00000000FBEC: 85153C24
	s_mov_b64 exec, s[20:21]                                   // 00000000FBF0: BEFE0114
	global_atomic_add_f32 v6, v174, s[8:9] offset:8            // 00000000FBF4: DD348008 0008AE06
	global_atomic_add_f32 v6, v178, s[8:9] offset:264          // 00000000FBFC: DD348108 0008B206
	s_mov_b64 exec, s[36:37]                                   // 00000000FC04: BEFE0124
	v_mov_b32_e32 v6, v69                                      // 00000000FC08: 7E0C0345
	s_mov_b64 s[60:61], 0                                      // 00000000FC0C: BEBC0180
	v_readlane_b32 s82, v3, 10                                 // 00000000FC10: D2890052 00011503
	s_and_b32 s82, s82, 0xffffff                               // 00000000FC18: 8652FF52 00FFFFFF
	s_cmp_lt_u32 s82, s66                                      // 00000000FC20: BF0A4252
	s_cselect_b32 s20, s36, s60                                // 00000000FC24: 85143C24
	v_readlane_b32 s82, v3, 11                                 // 00000000FC28: D2890052 00011703
	s_and_b32 s82, s82, 0xffffff                               // 00000000FC30: 8652FF52 00FFFFFF
	s_cmp_lt_u32 s82, s66                                      // 00000000FC38: BF0A4252
	s_cselect_b32 s21, s36, s60                                // 00000000FC3C: 85153C24
	s_mov_b64 exec, s[20:21]                                   // 00000000FC40: BEFE0114
	global_atomic_add_f32 v6, v175, s[8:9] offset:8            // 00000000FC44: DD348008 0008AF06
	global_atomic_add_f32 v6, v179, s[8:9] offset:264          // 00000000FC4C: DD348108 0008B306
	s_mov_b64 exec, s[36:37]                                   // 00000000FC54: BEFE0124
	v_mov_b32_e32 v6, v70                                      // 00000000FC58: 7E0C0346
	s_mov_b64 s[60:61], 0                                      // 00000000FC5C: BEBC0180
	v_readlane_b32 s82, v3, 12                                 // 00000000FC60: D2890052 00011903
	s_and_b32 s82, s82, 0xffffff                               // 00000000FC68: 8652FF52 00FFFFFF
	s_cmp_lt_u32 s82, s66                                      // 00000000FC70: BF0A4252
	s_cselect_b32 s20, s36, s60                                // 00000000FC74: 85143C24
	v_readlane_b32 s82, v3, 13                                 // 00000000FC78: D2890052 00011B03
	s_and_b32 s82, s82, 0xffffff                               // 00000000FC80: 8652FF52 00FFFFFF
	s_cmp_lt_u32 s82, s66                                      // 00000000FC88: BF0A4252
	s_cselect_b32 s21, s36, s60                                // 00000000FC8C: 85153C24
	s_mov_b64 exec, s[20:21]                                   // 00000000FC90: BEFE0114
	global_atomic_add_f32 v6, v182, s[8:9] offset:8            // 00000000FC94: DD348008 0008B606
	global_atomic_add_f32 v6, v186, s[8:9] offset:264          // 00000000FC9C: DD348108 0008BA06
	s_mov_b64 exec, s[36:37]                                   // 00000000FCA4: BEFE0124
	v_mov_b32_e32 v6, v71                                      // 00000000FCA8: 7E0C0347
	s_mov_b64 s[60:61], 0                                      // 00000000FCAC: BEBC0180
	v_readlane_b32 s82, v3, 14                                 // 00000000FCB0: D2890052 00011D03
	s_and_b32 s82, s82, 0xffffff                               // 00000000FCB8: 8652FF52 00FFFFFF
	s_cmp_lt_u32 s82, s66                                      // 00000000FCC0: BF0A4252
	s_cselect_b32 s20, s36, s60                                // 00000000FCC4: 85143C24
	v_readlane_b32 s82, v3, 15                                 // 00000000FCC8: D2890052 00011F03
	s_and_b32 s82, s82, 0xffffff                               // 00000000FCD0: 8652FF52 00FFFFFF
	s_cmp_lt_u32 s82, s66                                      // 00000000FCD8: BF0A4252
	s_cselect_b32 s21, s36, s60                                // 00000000FCDC: 85153C24
	s_mov_b64 exec, s[20:21]                                   // 00000000FCE0: BEFE0114
	global_atomic_add_f32 v6, v183, s[8:9] offset:8            // 00000000FCE4: DD348008 0008B706
	global_atomic_add_f32 v6, v187, s[8:9] offset:264          // 00000000FCEC: DD348108 0008BB06
	s_mov_b64 exec, s[36:37]                                   // 00000000FCF4: BEFE0124
	v_mov_b32_e32 v6, v72                                      // 00000000FCF8: 7E0C0348
	s_mov_b64 s[60:61], 0                                      // 00000000FCFC: BEBC0180
	v_readlane_b32 s82, v3, 16                                 // 00000000FD00: D2890052 00012103
	s_and_b32 s82, s82, 0xffffff                               // 00000000FD08: 8652FF52 00FFFFFF
	s_cmp_lt_u32 s82, s66                                      // 00000000FD10: BF0A4252
	s_cselect_b32 s20, s36, s60                                // 00000000FD14: 85143C24
	v_readlane_b32 s82, v3, 17                                 // 00000000FD18: D2890052 00012303
	s_and_b32 s82, s82, 0xffffff                               // 00000000FD20: 8652FF52 00FFFFFF
	s_cmp_lt_u32 s82, s66                                      // 00000000FD28: BF0A4252
	s_cselect_b32 s21, s36, s60                                // 00000000FD2C: 85153C24
	s_mov_b64 exec, s[20:21]                                   // 00000000FD30: BEFE0114
	global_atomic_add_f32 v6, v190, s[8:9] offset:8            // 00000000FD34: DD348008 0008BE06
	global_atomic_add_f32 v6, v194, s[8:9] offset:264          // 00000000FD3C: DD348108 0008C206
	s_mov_b64 exec, s[36:37]                                   // 00000000FD44: BEFE0124
	v_mov_b32_e32 v6, v73                                      // 00000000FD48: 7E0C0349
	s_mov_b64 s[60:61], 0                                      // 00000000FD4C: BEBC0180
	v_readlane_b32 s82, v3, 18                                 // 00000000FD50: D2890052 00012503
	s_and_b32 s82, s82, 0xffffff                               // 00000000FD58: 8652FF52 00FFFFFF
	s_cmp_lt_u32 s82, s66                                      // 00000000FD60: BF0A4252
	s_cselect_b32 s20, s36, s60                                // 00000000FD64: 85143C24
	v_readlane_b32 s82, v3, 19                                 // 00000000FD68: D2890052 00012703
	s_and_b32 s82, s82, 0xffffff                               // 00000000FD70: 8652FF52 00FFFFFF
	s_cmp_lt_u32 s82, s66                                      // 00000000FD78: BF0A4252
	s_cselect_b32 s21, s36, s60                                // 00000000FD7C: 85153C24
	s_mov_b64 exec, s[20:21]                                   // 00000000FD80: BEFE0114
	global_atomic_add_f32 v6, v191, s[8:9] offset:8            // 00000000FD84: DD348008 0008BF06
	global_atomic_add_f32 v6, v195, s[8:9] offset:264          // 00000000FD8C: DD348108 0008C306
	s_mov_b64 exec, s[36:37]                                   // 00000000FD94: BEFE0124
	v_mov_b32_e32 v6, v74                                      // 00000000FD98: 7E0C034A
	s_mov_b64 s[60:61], 0                                      // 00000000FD9C: BEBC0180
	v_readlane_b32 s82, v3, 20                                 // 00000000FDA0: D2890052 00012903
	s_and_b32 s82, s82, 0xffffff                               // 00000000FDA8: 8652FF52 00FFFFFF
	s_cmp_lt_u32 s82, s66                                      // 00000000FDB0: BF0A4252
	s_cselect_b32 s20, s36, s60                                // 00000000FDB4: 85143C24
	v_readlane_b32 s82, v3, 21                                 // 00000000FDB8: D2890052 00012B03
	s_and_b32 s82, s82, 0xffffff                               // 00000000FDC0: 8652FF52 00FFFFFF
	s_cmp_lt_u32 s82, s66                                      // 00000000FDC8: BF0A4252
	s_cselect_b32 s21, s36, s60                                // 00000000FDCC: 85153C24
	s_mov_b64 exec, s[20:21]                                   // 00000000FDD0: BEFE0114
	global_atomic_add_f32 v6, v198, s[8:9] offset:8            // 00000000FDD4: DD348008 0008C606
	global_atomic_add_f32 v6, v202, s[8:9] offset:264          // 00000000FDDC: DD348108 0008CA06
	s_mov_b64 exec, s[36:37]                                   // 00000000FDE4: BEFE0124
	v_mov_b32_e32 v6, v75                                      // 00000000FDE8: 7E0C034B
	s_mov_b64 s[60:61], 0                                      // 00000000FDEC: BEBC0180
	v_readlane_b32 s82, v3, 22                                 // 00000000FDF0: D2890052 00012D03
	s_and_b32 s82, s82, 0xffffff                               // 00000000FDF8: 8652FF52 00FFFFFF
	s_cmp_lt_u32 s82, s66                                      // 00000000FE00: BF0A4252
	s_cselect_b32 s20, s36, s60                                // 00000000FE04: 85143C24
	v_readlane_b32 s82, v3, 23                                 // 00000000FE08: D2890052 00012F03
	s_and_b32 s82, s82, 0xffffff                               // 00000000FE10: 8652FF52 00FFFFFF
	s_cmp_lt_u32 s82, s66                                      // 00000000FE18: BF0A4252
	s_cselect_b32 s21, s36, s60                                // 00000000FE1C: 85153C24
	s_mov_b64 exec, s[20:21]                                   // 00000000FE20: BEFE0114
	global_atomic_add_f32 v6, v199, s[8:9] offset:8            // 00000000FE24: DD348008 0008C706
	global_atomic_add_f32 v6, v203, s[8:9] offset:264          // 00000000FE2C: DD348108 0008CB06
	s_mov_b64 exec, s[36:37]                                   // 00000000FE34: BEFE0124
	v_mov_b32_e32 v6, v76                                      // 00000000FE38: 7E0C034C
	s_mov_b64 s[60:61], 0                                      // 00000000FE3C: BEBC0180
	v_readlane_b32 s82, v3, 24                                 // 00000000FE40: D2890052 00013103
	s_and_b32 s82, s82, 0xffffff                               // 00000000FE48: 8652FF52 00FFFFFF
	s_cmp_lt_u32 s82, s66                                      // 00000000FE50: BF0A4252
	s_cselect_b32 s20, s36, s60                                // 00000000FE54: 85143C24
	v_readlane_b32 s82, v3, 25                                 // 00000000FE58: D2890052 00013303
	s_and_b32 s82, s82, 0xffffff                               // 00000000FE60: 8652FF52 00FFFFFF
	s_cmp_lt_u32 s82, s66                                      // 00000000FE68: BF0A4252
	s_cselect_b32 s21, s36, s60                                // 00000000FE6C: 85153C24
	s_mov_b64 exec, s[20:21]                                   // 00000000FE70: BEFE0114
	global_atomic_add_f32 v6, v206, s[8:9] offset:8            // 00000000FE74: DD348008 0008CE06
	global_atomic_add_f32 v6, v210, s[8:9] offset:264          // 00000000FE7C: DD348108 0008D206
	s_mov_b64 exec, s[36:37]                                   // 00000000FE84: BEFE0124
	v_mov_b32_e32 v6, v77                                      // 00000000FE88: 7E0C034D
	s_mov_b64 s[60:61], 0                                      // 00000000FE8C: BEBC0180
	v_readlane_b32 s82, v3, 26                                 // 00000000FE90: D2890052 00013503
	s_and_b32 s82, s82, 0xffffff                               // 00000000FE98: 8652FF52 00FFFFFF
	s_cmp_lt_u32 s82, s66                                      // 00000000FEA0: BF0A4252
	s_cselect_b32 s20, s36, s60                                // 00000000FEA4: 85143C24
	v_readlane_b32 s82, v3, 27                                 // 00000000FEA8: D2890052 00013703
	s_and_b32 s82, s82, 0xffffff                               // 00000000FEB0: 8652FF52 00FFFFFF
	s_cmp_lt_u32 s82, s66                                      // 00000000FEB8: BF0A4252
	s_cselect_b32 s21, s36, s60                                // 00000000FEBC: 85153C24
	s_mov_b64 exec, s[20:21]                                   // 00000000FEC0: BEFE0114
	global_atomic_add_f32 v6, v207, s[8:9] offset:8            // 00000000FEC4: DD348008 0008CF06
	global_atomic_add_f32 v6, v211, s[8:9] offset:264          // 00000000FECC: DD348108 0008D306
	s_mov_b64 exec, s[36:37]                                   // 00000000FED4: BEFE0124
	v_mov_b32_e32 v6, v78                                      // 00000000FED8: 7E0C034E
	s_mov_b64 s[60:61], 0                                      // 00000000FEDC: BEBC0180
	v_readlane_b32 s82, v3, 28                                 // 00000000FEE0: D2890052 00013903
	s_and_b32 s82, s82, 0xffffff                               // 00000000FEE8: 8652FF52 00FFFFFF
	s_cmp_lt_u32 s82, s66                                      // 00000000FEF0: BF0A4252
	s_cselect_b32 s20, s36, s60                                // 00000000FEF4: 85143C24
	v_readlane_b32 s82, v3, 29                                 // 00000000FEF8: D2890052 00013B03
	s_and_b32 s82, s82, 0xffffff                               // 00000000FF00: 8652FF52 00FFFFFF
	s_cmp_lt_u32 s82, s66                                      // 00000000FF08: BF0A4252
	s_cselect_b32 s21, s36, s60                                // 00000000FF0C: 85153C24
	s_mov_b64 exec, s[20:21]                                   // 00000000FF10: BEFE0114
	global_atomic_add_f32 v6, v214, s[8:9] offset:8            // 00000000FF14: DD348008 0008D606
	global_atomic_add_f32 v6, v218, s[8:9] offset:264          // 00000000FF1C: DD348108 0008DA06
	s_mov_b64 exec, s[36:37]                                   // 00000000FF24: BEFE0124
	v_mov_b32_e32 v6, v79                                      // 00000000FF28: 7E0C034F
	s_mov_b64 s[60:61], 0                                      // 00000000FF2C: BEBC0180
	v_readlane_b32 s82, v3, 30                                 // 00000000FF30: D2890052 00013D03
	s_and_b32 s82, s82, 0xffffff                               // 00000000FF38: 8652FF52 00FFFFFF
	s_cmp_lt_u32 s82, s66                                      // 00000000FF40: BF0A4252
	s_cselect_b32 s20, s36, s60                                // 00000000FF44: 85143C24
	v_readlane_b32 s82, v3, 31                                 // 00000000FF48: D2890052 00013F03
	s_and_b32 s82, s82, 0xffffff                               // 00000000FF50: 8652FF52 00FFFFFF
	s_cmp_lt_u32 s82, s66                                      // 00000000FF58: BF0A4252
	s_cselect_b32 s21, s36, s60                                // 00000000FF5C: 85153C24
	s_mov_b64 exec, s[20:21]                                   // 00000000FF60: BEFE0114
	global_atomic_add_f32 v6, v215, s[8:9] offset:8            // 00000000FF64: DD348008 0008D706
	global_atomic_add_f32 v6, v219, s[8:9] offset:264          // 00000000FF6C: DD348108 0008DB06
	s_mov_b64 exec, s[36:37]                                   // 00000000FF74: BEFE0124
	v_mov_b32_e32 v6, v80                                      // 00000000FF78: 7E0C0350
	s_mov_b64 s[60:61], 0                                      // 00000000FF7C: BEBC0180
	v_readlane_b32 s82, v3, 32                                 // 00000000FF80: D2890052 00014103
	s_and_b32 s82, s82, 0xffffff                               // 00000000FF88: 8652FF52 00FFFFFF
	s_cmp_lt_u32 s82, s66                                      // 00000000FF90: BF0A4252
	s_cselect_b32 s20, s36, s60                                // 00000000FF94: 85143C24
	v_readlane_b32 s82, v3, 33                                 // 00000000FF98: D2890052 00014303
	s_and_b32 s82, s82, 0xffffff                               // 00000000FFA0: 8652FF52 00FFFFFF
	s_cmp_lt_u32 s82, s66                                      // 00000000FFA8: BF0A4252
	s_cselect_b32 s21, s36, s60                                // 00000000FFAC: 85153C24
	s_mov_b64 exec, s[20:21]                                   // 00000000FFB0: BEFE0114
	global_atomic_add_f32 v6, v222, s[8:9] offset:8            // 00000000FFB4: DD348008 0008DE06
	global_atomic_add_f32 v6, v226, s[8:9] offset:264          // 00000000FFBC: DD348108 0008E206
	s_mov_b64 exec, s[36:37]                                   // 00000000FFC4: BEFE0124
	v_mov_b32_e32 v6, v81                                      // 00000000FFC8: 7E0C0351
	s_mov_b64 s[60:61], 0                                      // 00000000FFCC: BEBC0180
	v_readlane_b32 s82, v3, 34                                 // 00000000FFD0: D2890052 00014503
	s_and_b32 s82, s82, 0xffffff                               // 00000000FFD8: 8652FF52 00FFFFFF
	s_cmp_lt_u32 s82, s66                                      // 00000000FFE0: BF0A4252
	s_cselect_b32 s20, s36, s60                                // 00000000FFE4: 85143C24
	v_readlane_b32 s82, v3, 35                                 // 00000000FFE8: D2890052 00014703
	s_and_b32 s82, s82, 0xffffff                               // 00000000FFF0: 8652FF52 00FFFFFF
	s_cmp_lt_u32 s82, s66                                      // 00000000FFF8: BF0A4252
	s_cselect_b32 s21, s36, s60                                // 00000000FFFC: 85153C24
	s_mov_b64 exec, s[20:21]                                   // 000000010000: BEFE0114
	global_atomic_add_f32 v6, v223, s[8:9] offset:8            // 000000010004: DD348008 0008DF06
	global_atomic_add_f32 v6, v227, s[8:9] offset:264          // 00000001000C: DD348108 0008E306
	s_mov_b64 exec, s[36:37]                                   // 000000010014: BEFE0124
	s_branch label_358A                                        // 000000010018: BF820000

000000000001001c <label_358A>:
	s_waitcnt vmcnt(0) expcnt(0) lgkmcnt(0)                    // 00000001001C: BF8C0000
	s_endpgm                                                   // 000000010020: BF810000
